;; amdgpu-corpus repo=zjin-lcf/HeCBench kind=compiled arch=gfx1030 opt=O3
	.amdgcn_target "amdgcn-amd-amdhsa--gfx1030"
	.amdhsa_code_object_version 6
	.text
	.protected	_Z17check_correctnessP6__halfS0_S0_i ; -- Begin function _Z17check_correctnessP6__halfS0_S0_i
	.globl	_Z17check_correctnessP6__halfS0_S0_i
	.p2align	8
	.type	_Z17check_correctnessP6__halfS0_S0_i,@function
_Z17check_correctnessP6__halfS0_S0_i:   ; @_Z17check_correctnessP6__halfS0_S0_i
; %bb.0:
	s_clause 0x1
	s_load_dword s0, s[4:5], 0x2c
	s_load_dword s7, s[4:5], 0x18
	s_add_u32 s8, s4, 32
	s_addc_u32 s9, s5, 0
	s_waitcnt lgkmcnt(0)
	s_and_b32 s0, s0, 0xffff
	v_mad_u64_u32 v[26:27], null, s6, s0, v[0:1]
	s_mov_b32 s0, exec_lo
	v_cmpx_gt_i32_e64 s7, v26
	s_cbranch_execz .LBB0_243
; %bb.1:
	s_clause 0x1
	s_load_dwordx4 s[0:3], s[4:5], 0x0
	s_load_dwordx2 s[4:5], s[4:5], 0x10
	s_cmp_lt_i32 s7, 1
	s_cbranch_scc1 .LBB0_4
; %bb.2:
	v_mul_lo_u32 v0, v26, s7
	v_mov_b32_e32 v2, 0
	v_mov_b32_e32 v32, 0
	v_ashrrev_i32_e32 v1, 31, v0
	v_lshlrev_b64 v[0:1], 1, v[0:1]
	s_waitcnt lgkmcnt(0)
	v_add_co_u32 v0, vcc_lo, s0, v0
	v_add_co_ci_u32_e64 v1, null, s1, v1, vcc_lo
	s_mov_b32 s0, s7
.LBB0_3:                                ; =>This Inner Loop Header: Depth=1
	global_load_ushort v3, v[0:1], off
	global_load_ushort v4, v2, s[2:3]
	v_add_co_u32 v0, vcc_lo, v0, 2
	s_add_i32 s0, s0, -1
	v_add_co_ci_u32_e64 v1, null, 0, v1, vcc_lo
	s_add_u32 s2, s2, 2
	s_addc_u32 s3, s3, 0
	s_cmp_eq_u32 s0, 0
	s_waitcnt vmcnt(0)
	v_fma_mix_f32 v32, v3, v4, v32 op_sel_hi:[1,1,0]
	s_cbranch_scc0 .LBB0_3
	s_branch .LBB0_5
.LBB0_4:
	v_mov_b32_e32 v32, 0
.LBB0_5:
	v_ashrrev_i32_e32 v27, 31, v26
	v_lshlrev_b64 v[0:1], 1, v[26:27]
	s_waitcnt lgkmcnt(0)
	v_add_co_u32 v0, vcc_lo, s4, v0
	v_add_co_ci_u32_e64 v1, null, s5, v1, vcc_lo
	global_load_ushort v2, v[0:1], off
	v_cvt_f64_i32_e32 v[0:1], s7
	v_ldexp_f64 v[0:1], v[0:1], -3
	v_ldexp_f64 v[0:1], v[0:1], -9
	v_cvt_f32_f64_e32 v0, v[0:1]
	s_waitcnt vmcnt(0)
	v_cvt_f32_f16_e32 v33, v2
	v_sub_f32_e32 v29, v32, v33
	v_cmp_gt_f32_e32 vcc_lo, v29, v0
	v_cmp_lt_f32_e64 s0, v29, -v0
	s_or_b32 s0, vcc_lo, s0
	s_and_b32 exec_lo, exec_lo, s0
	s_cbranch_execz .LBB0_243
; %bb.6:
	s_load_dwordx2 s[2:3], s[8:9], 0x50
	v_mbcnt_lo_u32_b32 v31, -1, 0
	v_mov_b32_e32 v6, 0
	v_mov_b32_e32 v7, 0
	v_readfirstlane_b32 s0, v31
	v_cmp_eq_u32_e64 s0, s0, v31
	s_and_saveexec_b32 s1, s0
	s_cbranch_execz .LBB0_12
; %bb.7:
	v_mov_b32_e32 v0, 0
	s_mov_b32 s4, exec_lo
	s_waitcnt lgkmcnt(0)
	global_load_dwordx2 v[3:4], v0, s[2:3] offset:24 glc dlc
	s_waitcnt vmcnt(0)
	buffer_gl1_inv
	buffer_gl0_inv
	s_clause 0x1
	global_load_dwordx2 v[1:2], v0, s[2:3] offset:40
	global_load_dwordx2 v[5:6], v0, s[2:3]
	s_waitcnt vmcnt(1)
	v_and_b32_e32 v2, v2, v4
	v_and_b32_e32 v1, v1, v3
	v_mul_lo_u32 v2, v2, 24
	v_mul_hi_u32 v7, v1, 24
	v_mul_lo_u32 v1, v1, 24
	v_add_nc_u32_e32 v2, v7, v2
	s_waitcnt vmcnt(0)
	v_add_co_u32 v1, vcc_lo, v5, v1
	v_add_co_ci_u32_e64 v2, null, v6, v2, vcc_lo
	global_load_dwordx2 v[1:2], v[1:2], off glc dlc
	s_waitcnt vmcnt(0)
	global_atomic_cmpswap_x2 v[6:7], v0, v[1:4], s[2:3] offset:24 glc
	s_waitcnt vmcnt(0)
	buffer_gl1_inv
	buffer_gl0_inv
	v_cmpx_ne_u64_e64 v[6:7], v[3:4]
	s_cbranch_execz .LBB0_11
; %bb.8:
	s_mov_b32 s5, 0
	.p2align	6
.LBB0_9:                                ; =>This Inner Loop Header: Depth=1
	s_sleep 1
	s_clause 0x1
	global_load_dwordx2 v[1:2], v0, s[2:3] offset:40
	global_load_dwordx2 v[8:9], v0, s[2:3]
	v_mov_b32_e32 v3, v6
	v_mov_b32_e32 v4, v7
	s_waitcnt vmcnt(1)
	v_and_b32_e32 v1, v1, v3
	v_and_b32_e32 v2, v2, v4
	s_waitcnt vmcnt(0)
	v_mad_u64_u32 v[5:6], null, v1, 24, v[8:9]
	v_mov_b32_e32 v1, v6
	v_mad_u64_u32 v[1:2], null, v2, 24, v[1:2]
	v_mov_b32_e32 v6, v1
	global_load_dwordx2 v[1:2], v[5:6], off glc dlc
	s_waitcnt vmcnt(0)
	global_atomic_cmpswap_x2 v[6:7], v0, v[1:4], s[2:3] offset:24 glc
	s_waitcnt vmcnt(0)
	buffer_gl1_inv
	buffer_gl0_inv
	v_cmp_eq_u64_e32 vcc_lo, v[6:7], v[3:4]
	s_or_b32 s5, vcc_lo, s5
	s_andn2_b32 exec_lo, exec_lo, s5
	s_cbranch_execnz .LBB0_9
; %bb.10:
	s_or_b32 exec_lo, exec_lo, s5
.LBB0_11:
	s_or_b32 exec_lo, exec_lo, s4
.LBB0_12:
	s_or_b32 exec_lo, exec_lo, s1
	v_mov_b32_e32 v5, 0
	v_readfirstlane_b32 s5, v7
	v_readfirstlane_b32 s4, v6
	s_mov_b32 s1, exec_lo
	s_waitcnt lgkmcnt(0)
	s_clause 0x1
	global_load_dwordx2 v[8:9], v5, s[2:3] offset:40
	global_load_dwordx4 v[0:3], v5, s[2:3]
	s_waitcnt vmcnt(1)
	v_readfirstlane_b32 s6, v8
	v_readfirstlane_b32 s7, v9
	s_and_b64 s[6:7], s[6:7], s[4:5]
	s_mul_i32 s8, s7, 24
	s_mul_hi_u32 s9, s6, 24
	s_mul_i32 s10, s6, 24
	s_add_i32 s9, s9, s8
	s_waitcnt vmcnt(0)
	v_add_co_u32 v8, vcc_lo, v0, s10
	v_add_co_ci_u32_e64 v9, null, s9, v1, vcc_lo
	s_and_saveexec_b32 s8, s0
	s_cbranch_execz .LBB0_14
; %bb.13:
	v_mov_b32_e32 v4, s1
	v_mov_b32_e32 v6, 2
	;; [unrolled: 1-line block ×3, first 2 shown]
	global_store_dwordx4 v[8:9], v[4:7], off offset:8
.LBB0_14:
	s_or_b32 exec_lo, exec_lo, s8
	s_lshl_b64 s[6:7], s[6:7], 12
	v_lshlrev_b32_e32 v30, 6, v31
	v_add_co_u32 v2, vcc_lo, v2, s6
	v_add_co_ci_u32_e64 v3, null, s7, v3, vcc_lo
	s_mov_b32 s8, 0
	v_add_co_u32 v10, vcc_lo, v2, v30
	s_mov_b32 s11, s8
	s_mov_b32 s9, s8
	;; [unrolled: 1-line block ×3, first 2 shown]
	v_mov_b32_e32 v4, 33
	v_mov_b32_e32 v6, v5
	;; [unrolled: 1-line block ×3, first 2 shown]
	v_readfirstlane_b32 s6, v2
	v_readfirstlane_b32 s7, v3
	v_mov_b32_e32 v15, s11
	v_add_co_ci_u32_e64 v11, null, 0, v3, vcc_lo
	v_mov_b32_e32 v14, s10
	v_mov_b32_e32 v13, s9
	;; [unrolled: 1-line block ×3, first 2 shown]
	global_store_dwordx4 v30, v[4:7], s[6:7]
	global_store_dwordx4 v30, v[12:15], s[6:7] offset:16
	global_store_dwordx4 v30, v[12:15], s[6:7] offset:32
	;; [unrolled: 1-line block ×3, first 2 shown]
	s_and_saveexec_b32 s1, s0
	s_cbranch_execz .LBB0_22
; %bb.15:
	v_mov_b32_e32 v6, 0
	v_mov_b32_e32 v12, s4
	;; [unrolled: 1-line block ×3, first 2 shown]
	s_mov_b32 s6, exec_lo
	s_clause 0x1
	global_load_dwordx2 v[14:15], v6, s[2:3] offset:32 glc dlc
	global_load_dwordx2 v[2:3], v6, s[2:3] offset:40
	s_waitcnt vmcnt(0)
	v_and_b32_e32 v3, s5, v3
	v_and_b32_e32 v2, s4, v2
	v_mul_lo_u32 v3, v3, 24
	v_mul_hi_u32 v4, v2, 24
	v_mul_lo_u32 v2, v2, 24
	v_add_nc_u32_e32 v3, v4, v3
	v_add_co_u32 v4, vcc_lo, v0, v2
	v_add_co_ci_u32_e64 v5, null, v1, v3, vcc_lo
	global_store_dwordx2 v[4:5], v[14:15], off
	s_waitcnt_vscnt null, 0x0
	global_atomic_cmpswap_x2 v[2:3], v6, v[12:15], s[2:3] offset:32 glc
	s_waitcnt vmcnt(0)
	v_cmpx_ne_u64_e64 v[2:3], v[14:15]
	s_cbranch_execz .LBB0_18
; %bb.16:
	s_mov_b32 s7, 0
.LBB0_17:                               ; =>This Inner Loop Header: Depth=1
	v_mov_b32_e32 v0, s4
	v_mov_b32_e32 v1, s5
	s_sleep 1
	global_store_dwordx2 v[4:5], v[2:3], off
	s_waitcnt_vscnt null, 0x0
	global_atomic_cmpswap_x2 v[0:1], v6, v[0:3], s[2:3] offset:32 glc
	s_waitcnt vmcnt(0)
	v_cmp_eq_u64_e32 vcc_lo, v[0:1], v[2:3]
	v_mov_b32_e32 v3, v1
	v_mov_b32_e32 v2, v0
	s_or_b32 s7, vcc_lo, s7
	s_andn2_b32 exec_lo, exec_lo, s7
	s_cbranch_execnz .LBB0_17
.LBB0_18:
	s_or_b32 exec_lo, exec_lo, s6
	v_mov_b32_e32 v3, 0
	s_mov_b32 s7, exec_lo
	s_mov_b32 s6, exec_lo
	v_mbcnt_lo_u32_b32 v2, s7, 0
	global_load_dwordx2 v[0:1], v3, s[2:3] offset:16
	v_cmpx_eq_u32_e32 0, v2
	s_cbranch_execz .LBB0_20
; %bb.19:
	s_bcnt1_i32_b32 s7, s7
	v_mov_b32_e32 v2, s7
	s_waitcnt vmcnt(0)
	global_atomic_add_x2 v[0:1], v[2:3], off offset:8
.LBB0_20:
	s_or_b32 exec_lo, exec_lo, s6
	s_waitcnt vmcnt(0)
	global_load_dwordx2 v[2:3], v[0:1], off offset:16
	s_waitcnt vmcnt(0)
	v_cmp_eq_u64_e32 vcc_lo, 0, v[2:3]
	s_cbranch_vccnz .LBB0_22
; %bb.21:
	global_load_dword v0, v[0:1], off offset:24
	v_mov_b32_e32 v1, 0
	s_waitcnt vmcnt(0)
	v_readfirstlane_b32 s6, v0
	s_waitcnt_vscnt null, 0x0
	global_store_dwordx2 v[2:3], v[0:1], off
	s_and_b32 m0, s6, 0x7fffff
	s_sendmsg sendmsg(MSG_INTERRUPT)
.LBB0_22:
	s_or_b32 exec_lo, exec_lo, s1
	s_branch .LBB0_26
	.p2align	6
.LBB0_23:                               ;   in Loop: Header=BB0_26 Depth=1
	s_or_b32 exec_lo, exec_lo, s1
	v_readfirstlane_b32 s1, v0
	s_cmp_eq_u32 s1, 0
	s_cbranch_scc1 .LBB0_25
; %bb.24:                               ;   in Loop: Header=BB0_26 Depth=1
	s_sleep 1
	s_cbranch_execnz .LBB0_26
	s_branch .LBB0_28
	.p2align	6
.LBB0_25:
	s_branch .LBB0_28
.LBB0_26:                               ; =>This Inner Loop Header: Depth=1
	v_mov_b32_e32 v0, 1
	s_and_saveexec_b32 s1, s0
	s_cbranch_execz .LBB0_23
; %bb.27:                               ;   in Loop: Header=BB0_26 Depth=1
	global_load_dword v0, v[8:9], off offset:20 glc dlc
	s_waitcnt vmcnt(0)
	buffer_gl1_inv
	buffer_gl0_inv
	v_and_b32_e32 v0, 1, v0
	s_branch .LBB0_23
.LBB0_28:
	global_load_dwordx2 v[0:1], v[10:11], off
	s_and_saveexec_b32 s6, s0
	s_cbranch_execz .LBB0_32
; %bb.29:
	v_mov_b32_e32 v8, 0
	s_clause 0x2
	global_load_dwordx2 v[2:3], v8, s[2:3] offset:40
	global_load_dwordx2 v[11:12], v8, s[2:3] offset:24 glc dlc
	global_load_dwordx2 v[4:5], v8, s[2:3]
	s_waitcnt vmcnt(2)
	v_readfirstlane_b32 s8, v2
	v_readfirstlane_b32 s9, v3
	s_add_u32 s7, s8, 1
	s_addc_u32 s10, s9, 0
	s_add_u32 s0, s7, s4
	s_addc_u32 s1, s10, s5
	s_cmp_eq_u64 s[0:1], 0
	s_cselect_b32 s1, s10, s1
	s_cselect_b32 s0, s7, s0
	v_mov_b32_e32 v10, s1
	s_and_b64 s[4:5], s[0:1], s[8:9]
	v_mov_b32_e32 v9, s0
	s_mul_i32 s5, s5, 24
	s_mul_hi_u32 s7, s4, 24
	s_mul_i32 s4, s4, 24
	s_add_i32 s7, s7, s5
	s_waitcnt vmcnt(0)
	v_add_co_u32 v6, vcc_lo, v4, s4
	v_add_co_ci_u32_e64 v7, null, s7, v5, vcc_lo
	global_store_dwordx2 v[6:7], v[11:12], off
	s_waitcnt_vscnt null, 0x0
	global_atomic_cmpswap_x2 v[4:5], v8, v[9:12], s[2:3] offset:24 glc
	s_waitcnt vmcnt(0)
	v_cmp_ne_u64_e32 vcc_lo, v[4:5], v[11:12]
	s_and_b32 exec_lo, exec_lo, vcc_lo
	s_cbranch_execz .LBB0_32
; %bb.30:
	s_mov_b32 s4, 0
.LBB0_31:                               ; =>This Inner Loop Header: Depth=1
	v_mov_b32_e32 v2, s0
	v_mov_b32_e32 v3, s1
	s_sleep 1
	global_store_dwordx2 v[6:7], v[4:5], off
	s_waitcnt_vscnt null, 0x0
	global_atomic_cmpswap_x2 v[2:3], v8, v[2:5], s[2:3] offset:24 glc
	s_waitcnt vmcnt(0)
	v_cmp_eq_u64_e32 vcc_lo, v[2:3], v[4:5]
	v_mov_b32_e32 v5, v3
	v_mov_b32_e32 v4, v2
	s_or_b32 s4, vcc_lo, s4
	s_andn2_b32 exec_lo, exec_lo, s4
	s_cbranch_execnz .LBB0_31
.LBB0_32:
	s_or_b32 exec_lo, exec_lo, s6
	s_getpc_b64 s[4:5]
	s_add_u32 s4, s4, .str@rel32@lo+4
	s_addc_u32 s5, s5, .str@rel32@hi+12
	s_cmp_lg_u64 s[4:5], 0
	s_cbranch_scc0 .LBB0_111
; %bb.33:
	s_waitcnt vmcnt(0)
	v_and_b32_e32 v34, 2, v0
	v_mov_b32_e32 v7, 0
	v_and_b32_e32 v2, -3, v0
	v_mov_b32_e32 v3, v1
	v_mov_b32_e32 v8, 2
	;; [unrolled: 1-line block ×3, first 2 shown]
	s_mov_b64 s[6:7], 31
	s_branch .LBB0_35
.LBB0_34:                               ;   in Loop: Header=BB0_35 Depth=1
	s_or_b32 exec_lo, exec_lo, s12
	s_sub_u32 s6, s6, s8
	s_subb_u32 s7, s7, s9
	s_add_u32 s4, s4, s8
	s_addc_u32 s5, s5, s9
	s_cmp_lg_u64 s[6:7], 0
	s_cbranch_scc0 .LBB0_110
.LBB0_35:                               ; =>This Loop Header: Depth=1
                                        ;     Child Loop BB0_38 Depth 2
                                        ;     Child Loop BB0_45 Depth 2
	;; [unrolled: 1-line block ×11, first 2 shown]
	v_cmp_lt_u64_e64 s0, s[6:7], 56
	v_cmp_gt_u64_e64 s10, s[6:7], 7
	s_and_b32 s0, s0, exec_lo
	s_cselect_b32 s9, s7, 0
	s_cselect_b32 s8, s6, 56
	s_add_u32 s0, s4, 8
	s_addc_u32 s1, s5, 0
	s_and_b32 vcc_lo, exec_lo, s10
	s_cbranch_vccnz .LBB0_40
; %bb.36:                               ;   in Loop: Header=BB0_35 Depth=1
	v_mov_b32_e32 v4, 0
	v_mov_b32_e32 v5, 0
	s_cmp_eq_u64 s[6:7], 0
	s_cbranch_scc1 .LBB0_39
; %bb.37:                               ;   in Loop: Header=BB0_35 Depth=1
	s_lshl_b64 s[0:1], s[8:9], 3
	s_mov_b64 s[10:11], 0
	s_mov_b64 s[12:13], s[4:5]
.LBB0_38:                               ;   Parent Loop BB0_35 Depth=1
                                        ; =>  This Inner Loop Header: Depth=2
	global_load_ubyte v6, v7, s[12:13]
	s_waitcnt vmcnt(0)
	v_and_b32_e32 v6, 0xffff, v6
	v_lshlrev_b64 v[10:11], s10, v[6:7]
	s_add_u32 s10, s10, 8
	s_addc_u32 s11, s11, 0
	s_add_u32 s12, s12, 1
	s_addc_u32 s13, s13, 0
	s_cmp_lg_u32 s0, s10
	v_or_b32_e32 v4, v10, v4
	v_or_b32_e32 v5, v11, v5
	s_cbranch_scc1 .LBB0_38
.LBB0_39:                               ;   in Loop: Header=BB0_35 Depth=1
	s_mov_b64 s[0:1], s[4:5]
	s_mov_b32 s14, 0
	s_cbranch_execz .LBB0_41
	s_branch .LBB0_42
.LBB0_40:                               ;   in Loop: Header=BB0_35 Depth=1
	s_mov_b32 s14, 0
.LBB0_41:                               ;   in Loop: Header=BB0_35 Depth=1
	global_load_dwordx2 v[4:5], v7, s[4:5]
	s_add_i32 s14, s8, -8
.LBB0_42:                               ;   in Loop: Header=BB0_35 Depth=1
	s_add_u32 s10, s0, 8
	s_addc_u32 s11, s1, 0
	s_cmp_gt_u32 s14, 7
	s_cbranch_scc1 .LBB0_47
; %bb.43:                               ;   in Loop: Header=BB0_35 Depth=1
	v_mov_b32_e32 v10, 0
	v_mov_b32_e32 v11, 0
	s_cmp_eq_u32 s14, 0
	s_cbranch_scc1 .LBB0_46
; %bb.44:                               ;   in Loop: Header=BB0_35 Depth=1
	s_mov_b64 s[10:11], 0
	s_mov_b64 s[12:13], 0
.LBB0_45:                               ;   Parent Loop BB0_35 Depth=1
                                        ; =>  This Inner Loop Header: Depth=2
	s_add_u32 s16, s0, s12
	s_addc_u32 s17, s1, s13
	s_add_u32 s12, s12, 1
	global_load_ubyte v6, v7, s[16:17]
	s_addc_u32 s13, s13, 0
	s_waitcnt vmcnt(0)
	v_and_b32_e32 v6, 0xffff, v6
	v_lshlrev_b64 v[12:13], s10, v[6:7]
	s_add_u32 s10, s10, 8
	s_addc_u32 s11, s11, 0
	s_cmp_lg_u32 s14, s12
	v_or_b32_e32 v10, v12, v10
	v_or_b32_e32 v11, v13, v11
	s_cbranch_scc1 .LBB0_45
.LBB0_46:                               ;   in Loop: Header=BB0_35 Depth=1
	s_mov_b64 s[10:11], s[0:1]
	s_mov_b32 s15, 0
	s_cbranch_execz .LBB0_48
	s_branch .LBB0_49
.LBB0_47:                               ;   in Loop: Header=BB0_35 Depth=1
                                        ; implicit-def: $vgpr10_vgpr11
	s_mov_b32 s15, 0
.LBB0_48:                               ;   in Loop: Header=BB0_35 Depth=1
	global_load_dwordx2 v[10:11], v7, s[0:1]
	s_add_i32 s15, s14, -8
.LBB0_49:                               ;   in Loop: Header=BB0_35 Depth=1
	s_add_u32 s0, s10, 8
	s_addc_u32 s1, s11, 0
	s_cmp_gt_u32 s15, 7
	s_cbranch_scc1 .LBB0_54
; %bb.50:                               ;   in Loop: Header=BB0_35 Depth=1
	v_mov_b32_e32 v12, 0
	v_mov_b32_e32 v13, 0
	s_cmp_eq_u32 s15, 0
	s_cbranch_scc1 .LBB0_53
; %bb.51:                               ;   in Loop: Header=BB0_35 Depth=1
	s_mov_b64 s[0:1], 0
	s_mov_b64 s[12:13], 0
.LBB0_52:                               ;   Parent Loop BB0_35 Depth=1
                                        ; =>  This Inner Loop Header: Depth=2
	s_add_u32 s16, s10, s12
	s_addc_u32 s17, s11, s13
	s_add_u32 s12, s12, 1
	global_load_ubyte v6, v7, s[16:17]
	s_addc_u32 s13, s13, 0
	s_waitcnt vmcnt(0)
	v_and_b32_e32 v6, 0xffff, v6
	v_lshlrev_b64 v[14:15], s0, v[6:7]
	s_add_u32 s0, s0, 8
	s_addc_u32 s1, s1, 0
	s_cmp_lg_u32 s15, s12
	v_or_b32_e32 v12, v14, v12
	v_or_b32_e32 v13, v15, v13
	s_cbranch_scc1 .LBB0_52
.LBB0_53:                               ;   in Loop: Header=BB0_35 Depth=1
	s_mov_b64 s[0:1], s[10:11]
	s_mov_b32 s14, 0
	s_cbranch_execz .LBB0_55
	s_branch .LBB0_56
.LBB0_54:                               ;   in Loop: Header=BB0_35 Depth=1
	s_mov_b32 s14, 0
.LBB0_55:                               ;   in Loop: Header=BB0_35 Depth=1
	global_load_dwordx2 v[12:13], v7, s[10:11]
	s_add_i32 s14, s15, -8
.LBB0_56:                               ;   in Loop: Header=BB0_35 Depth=1
	s_add_u32 s10, s0, 8
	s_addc_u32 s11, s1, 0
	s_cmp_gt_u32 s14, 7
	s_cbranch_scc1 .LBB0_61
; %bb.57:                               ;   in Loop: Header=BB0_35 Depth=1
	v_mov_b32_e32 v14, 0
	v_mov_b32_e32 v15, 0
	s_cmp_eq_u32 s14, 0
	s_cbranch_scc1 .LBB0_60
; %bb.58:                               ;   in Loop: Header=BB0_35 Depth=1
	s_mov_b64 s[10:11], 0
	s_mov_b64 s[12:13], 0
.LBB0_59:                               ;   Parent Loop BB0_35 Depth=1
                                        ; =>  This Inner Loop Header: Depth=2
	s_add_u32 s16, s0, s12
	s_addc_u32 s17, s1, s13
	s_add_u32 s12, s12, 1
	global_load_ubyte v6, v7, s[16:17]
	s_addc_u32 s13, s13, 0
	s_waitcnt vmcnt(0)
	v_and_b32_e32 v6, 0xffff, v6
	v_lshlrev_b64 v[16:17], s10, v[6:7]
	s_add_u32 s10, s10, 8
	s_addc_u32 s11, s11, 0
	s_cmp_lg_u32 s14, s12
	v_or_b32_e32 v14, v16, v14
	v_or_b32_e32 v15, v17, v15
	s_cbranch_scc1 .LBB0_59
.LBB0_60:                               ;   in Loop: Header=BB0_35 Depth=1
	s_mov_b64 s[10:11], s[0:1]
	s_mov_b32 s15, 0
	s_cbranch_execz .LBB0_62
	s_branch .LBB0_63
.LBB0_61:                               ;   in Loop: Header=BB0_35 Depth=1
                                        ; implicit-def: $vgpr14_vgpr15
	s_mov_b32 s15, 0
.LBB0_62:                               ;   in Loop: Header=BB0_35 Depth=1
	global_load_dwordx2 v[14:15], v7, s[0:1]
	s_add_i32 s15, s14, -8
.LBB0_63:                               ;   in Loop: Header=BB0_35 Depth=1
	s_add_u32 s0, s10, 8
	s_addc_u32 s1, s11, 0
	s_cmp_gt_u32 s15, 7
	s_cbranch_scc1 .LBB0_68
; %bb.64:                               ;   in Loop: Header=BB0_35 Depth=1
	v_mov_b32_e32 v16, 0
	v_mov_b32_e32 v17, 0
	s_cmp_eq_u32 s15, 0
	s_cbranch_scc1 .LBB0_67
; %bb.65:                               ;   in Loop: Header=BB0_35 Depth=1
	s_mov_b64 s[0:1], 0
	s_mov_b64 s[12:13], 0
.LBB0_66:                               ;   Parent Loop BB0_35 Depth=1
                                        ; =>  This Inner Loop Header: Depth=2
	s_add_u32 s16, s10, s12
	s_addc_u32 s17, s11, s13
	s_add_u32 s12, s12, 1
	global_load_ubyte v6, v7, s[16:17]
	s_addc_u32 s13, s13, 0
	s_waitcnt vmcnt(0)
	v_and_b32_e32 v6, 0xffff, v6
	v_lshlrev_b64 v[18:19], s0, v[6:7]
	s_add_u32 s0, s0, 8
	s_addc_u32 s1, s1, 0
	s_cmp_lg_u32 s15, s12
	v_or_b32_e32 v16, v18, v16
	v_or_b32_e32 v17, v19, v17
	s_cbranch_scc1 .LBB0_66
.LBB0_67:                               ;   in Loop: Header=BB0_35 Depth=1
	s_mov_b64 s[0:1], s[10:11]
	s_mov_b32 s14, 0
	s_cbranch_execz .LBB0_69
	s_branch .LBB0_70
.LBB0_68:                               ;   in Loop: Header=BB0_35 Depth=1
	s_mov_b32 s14, 0
.LBB0_69:                               ;   in Loop: Header=BB0_35 Depth=1
	global_load_dwordx2 v[16:17], v7, s[10:11]
	s_add_i32 s14, s15, -8
.LBB0_70:                               ;   in Loop: Header=BB0_35 Depth=1
	s_add_u32 s10, s0, 8
	s_addc_u32 s11, s1, 0
	s_cmp_gt_u32 s14, 7
	s_cbranch_scc1 .LBB0_75
; %bb.71:                               ;   in Loop: Header=BB0_35 Depth=1
	v_mov_b32_e32 v18, 0
	v_mov_b32_e32 v19, 0
	s_cmp_eq_u32 s14, 0
	s_cbranch_scc1 .LBB0_74
; %bb.72:                               ;   in Loop: Header=BB0_35 Depth=1
	s_mov_b64 s[10:11], 0
	s_mov_b64 s[12:13], 0
.LBB0_73:                               ;   Parent Loop BB0_35 Depth=1
                                        ; =>  This Inner Loop Header: Depth=2
	s_add_u32 s16, s0, s12
	s_addc_u32 s17, s1, s13
	s_add_u32 s12, s12, 1
	global_load_ubyte v6, v7, s[16:17]
	s_addc_u32 s13, s13, 0
	s_waitcnt vmcnt(0)
	v_and_b32_e32 v6, 0xffff, v6
	v_lshlrev_b64 v[20:21], s10, v[6:7]
	s_add_u32 s10, s10, 8
	s_addc_u32 s11, s11, 0
	s_cmp_lg_u32 s14, s12
	v_or_b32_e32 v18, v20, v18
	v_or_b32_e32 v19, v21, v19
	s_cbranch_scc1 .LBB0_73
.LBB0_74:                               ;   in Loop: Header=BB0_35 Depth=1
	s_mov_b64 s[10:11], s[0:1]
	s_mov_b32 s15, 0
	s_cbranch_execz .LBB0_76
	s_branch .LBB0_77
.LBB0_75:                               ;   in Loop: Header=BB0_35 Depth=1
                                        ; implicit-def: $vgpr18_vgpr19
	s_mov_b32 s15, 0
.LBB0_76:                               ;   in Loop: Header=BB0_35 Depth=1
	global_load_dwordx2 v[18:19], v7, s[0:1]
	s_add_i32 s15, s14, -8
.LBB0_77:                               ;   in Loop: Header=BB0_35 Depth=1
	s_cmp_gt_u32 s15, 7
	s_cbranch_scc1 .LBB0_82
; %bb.78:                               ;   in Loop: Header=BB0_35 Depth=1
	v_mov_b32_e32 v20, 0
	v_mov_b32_e32 v21, 0
	s_cmp_eq_u32 s15, 0
	s_cbranch_scc1 .LBB0_81
; %bb.79:                               ;   in Loop: Header=BB0_35 Depth=1
	s_mov_b64 s[0:1], 0
	s_mov_b64 s[12:13], s[10:11]
.LBB0_80:                               ;   Parent Loop BB0_35 Depth=1
                                        ; =>  This Inner Loop Header: Depth=2
	global_load_ubyte v6, v7, s[12:13]
	s_add_i32 s15, s15, -1
	s_waitcnt vmcnt(0)
	v_and_b32_e32 v6, 0xffff, v6
	v_lshlrev_b64 v[22:23], s0, v[6:7]
	s_add_u32 s0, s0, 8
	s_addc_u32 s1, s1, 0
	s_add_u32 s12, s12, 1
	s_addc_u32 s13, s13, 0
	s_cmp_lg_u32 s15, 0
	v_or_b32_e32 v20, v22, v20
	v_or_b32_e32 v21, v23, v21
	s_cbranch_scc1 .LBB0_80
.LBB0_81:                               ;   in Loop: Header=BB0_35 Depth=1
	s_cbranch_execz .LBB0_83
	s_branch .LBB0_84
.LBB0_82:                               ;   in Loop: Header=BB0_35 Depth=1
.LBB0_83:                               ;   in Loop: Header=BB0_35 Depth=1
	global_load_dwordx2 v[20:21], v7, s[10:11]
.LBB0_84:                               ;   in Loop: Header=BB0_35 Depth=1
	v_readfirstlane_b32 s0, v31
	v_mov_b32_e32 v27, 0
	v_mov_b32_e32 v28, 0
	v_cmp_eq_u32_e64 s0, s0, v31
	s_and_saveexec_b32 s1, s0
	s_cbranch_execz .LBB0_90
; %bb.85:                               ;   in Loop: Header=BB0_35 Depth=1
	global_load_dwordx2 v[24:25], v7, s[2:3] offset:24 glc dlc
	s_waitcnt vmcnt(0)
	buffer_gl1_inv
	buffer_gl0_inv
	s_clause 0x1
	global_load_dwordx2 v[22:23], v7, s[2:3] offset:40
	global_load_dwordx2 v[27:28], v7, s[2:3]
	s_mov_b32 s10, exec_lo
	s_waitcnt vmcnt(1)
	v_and_b32_e32 v6, v23, v25
	v_and_b32_e32 v22, v22, v24
	v_mul_lo_u32 v6, v6, 24
	v_mul_hi_u32 v23, v22, 24
	v_mul_lo_u32 v22, v22, 24
	v_add_nc_u32_e32 v6, v23, v6
	s_waitcnt vmcnt(0)
	v_add_co_u32 v22, vcc_lo, v27, v22
	v_add_co_ci_u32_e64 v23, null, v28, v6, vcc_lo
	global_load_dwordx2 v[22:23], v[22:23], off glc dlc
	s_waitcnt vmcnt(0)
	global_atomic_cmpswap_x2 v[27:28], v7, v[22:25], s[2:3] offset:24 glc
	s_waitcnt vmcnt(0)
	buffer_gl1_inv
	buffer_gl0_inv
	v_cmpx_ne_u64_e64 v[27:28], v[24:25]
	s_cbranch_execz .LBB0_89
; %bb.86:                               ;   in Loop: Header=BB0_35 Depth=1
	s_mov_b32 s11, 0
	.p2align	6
.LBB0_87:                               ;   Parent Loop BB0_35 Depth=1
                                        ; =>  This Inner Loop Header: Depth=2
	s_sleep 1
	s_clause 0x1
	global_load_dwordx2 v[22:23], v7, s[2:3] offset:40
	global_load_dwordx2 v[35:36], v7, s[2:3]
	v_mov_b32_e32 v24, v27
	v_mov_b32_e32 v25, v28
	s_waitcnt vmcnt(1)
	v_and_b32_e32 v6, v22, v24
	v_and_b32_e32 v22, v23, v25
	s_waitcnt vmcnt(0)
	v_mad_u64_u32 v[27:28], null, v6, 24, v[35:36]
	v_mov_b32_e32 v6, v28
	v_mad_u64_u32 v[22:23], null, v22, 24, v[6:7]
	v_mov_b32_e32 v28, v22
	global_load_dwordx2 v[22:23], v[27:28], off glc dlc
	s_waitcnt vmcnt(0)
	global_atomic_cmpswap_x2 v[27:28], v7, v[22:25], s[2:3] offset:24 glc
	s_waitcnt vmcnt(0)
	buffer_gl1_inv
	buffer_gl0_inv
	v_cmp_eq_u64_e32 vcc_lo, v[27:28], v[24:25]
	s_or_b32 s11, vcc_lo, s11
	s_andn2_b32 exec_lo, exec_lo, s11
	s_cbranch_execnz .LBB0_87
; %bb.88:                               ;   in Loop: Header=BB0_35 Depth=1
	s_or_b32 exec_lo, exec_lo, s11
.LBB0_89:                               ;   in Loop: Header=BB0_35 Depth=1
	s_or_b32 exec_lo, exec_lo, s10
.LBB0_90:                               ;   in Loop: Header=BB0_35 Depth=1
	s_or_b32 exec_lo, exec_lo, s1
	s_clause 0x1
	global_load_dwordx2 v[35:36], v7, s[2:3] offset:40
	global_load_dwordx4 v[22:25], v7, s[2:3]
	v_readfirstlane_b32 s11, v28
	v_readfirstlane_b32 s10, v27
	s_mov_b32 s1, exec_lo
	s_waitcnt vmcnt(1)
	v_readfirstlane_b32 s12, v35
	v_readfirstlane_b32 s13, v36
	s_and_b64 s[12:13], s[12:13], s[10:11]
	s_mul_i32 s14, s13, 24
	s_mul_hi_u32 s15, s12, 24
	s_mul_i32 s16, s12, 24
	s_add_i32 s15, s15, s14
	s_waitcnt vmcnt(0)
	v_add_co_u32 v27, vcc_lo, v22, s16
	v_add_co_ci_u32_e64 v28, null, s15, v23, vcc_lo
	s_and_saveexec_b32 s14, s0
	s_cbranch_execz .LBB0_92
; %bb.91:                               ;   in Loop: Header=BB0_35 Depth=1
	v_mov_b32_e32 v6, s1
	global_store_dwordx4 v[27:28], v[6:9], off offset:8
.LBB0_92:                               ;   in Loop: Header=BB0_35 Depth=1
	s_or_b32 exec_lo, exec_lo, s14
	v_cmp_lt_u64_e64 vcc_lo, s[6:7], 57
	s_lshl_b64 s[12:13], s[12:13], 12
	v_and_b32_e32 v2, 0xffffff1f, v2
	s_lshl_b32 s1, s8, 2
	s_add_i32 s1, s1, 28
	v_cndmask_b32_e32 v6, 0, v34, vcc_lo
	v_add_co_u32 v24, vcc_lo, v24, s12
	v_add_co_ci_u32_e64 v25, null, s13, v25, vcc_lo
	v_or_b32_e32 v2, v2, v6
	v_readfirstlane_b32 s12, v24
	v_readfirstlane_b32 s13, v25
	v_and_or_b32 v2, 0x1e0, s1, v2
	global_store_dwordx4 v30, v[10:13], s[12:13] offset:16
	global_store_dwordx4 v30, v[2:5], s[12:13]
	global_store_dwordx4 v30, v[14:17], s[12:13] offset:32
	global_store_dwordx4 v30, v[18:21], s[12:13] offset:48
	s_and_saveexec_b32 s1, s0
	s_cbranch_execz .LBB0_100
; %bb.93:                               ;   in Loop: Header=BB0_35 Depth=1
	s_clause 0x1
	global_load_dwordx2 v[14:15], v7, s[2:3] offset:32 glc dlc
	global_load_dwordx2 v[2:3], v7, s[2:3] offset:40
	v_mov_b32_e32 v12, s10
	v_mov_b32_e32 v13, s11
	s_waitcnt vmcnt(0)
	v_readfirstlane_b32 s12, v2
	v_readfirstlane_b32 s13, v3
	s_and_b64 s[12:13], s[12:13], s[10:11]
	s_mul_i32 s13, s13, 24
	s_mul_hi_u32 s14, s12, 24
	s_mul_i32 s12, s12, 24
	s_add_i32 s14, s14, s13
	v_add_co_u32 v10, vcc_lo, v22, s12
	v_add_co_ci_u32_e64 v11, null, s14, v23, vcc_lo
	s_mov_b32 s12, exec_lo
	global_store_dwordx2 v[10:11], v[14:15], off
	s_waitcnt_vscnt null, 0x0
	global_atomic_cmpswap_x2 v[4:5], v7, v[12:15], s[2:3] offset:32 glc
	s_waitcnt vmcnt(0)
	v_cmpx_ne_u64_e64 v[4:5], v[14:15]
	s_cbranch_execz .LBB0_96
; %bb.94:                               ;   in Loop: Header=BB0_35 Depth=1
	s_mov_b32 s13, 0
.LBB0_95:                               ;   Parent Loop BB0_35 Depth=1
                                        ; =>  This Inner Loop Header: Depth=2
	v_mov_b32_e32 v2, s10
	v_mov_b32_e32 v3, s11
	s_sleep 1
	global_store_dwordx2 v[10:11], v[4:5], off
	s_waitcnt_vscnt null, 0x0
	global_atomic_cmpswap_x2 v[2:3], v7, v[2:5], s[2:3] offset:32 glc
	s_waitcnt vmcnt(0)
	v_cmp_eq_u64_e32 vcc_lo, v[2:3], v[4:5]
	v_mov_b32_e32 v5, v3
	v_mov_b32_e32 v4, v2
	s_or_b32 s13, vcc_lo, s13
	s_andn2_b32 exec_lo, exec_lo, s13
	s_cbranch_execnz .LBB0_95
.LBB0_96:                               ;   in Loop: Header=BB0_35 Depth=1
	s_or_b32 exec_lo, exec_lo, s12
	global_load_dwordx2 v[2:3], v7, s[2:3] offset:16
	s_mov_b32 s13, exec_lo
	s_mov_b32 s12, exec_lo
	v_mbcnt_lo_u32_b32 v4, s13, 0
	v_cmpx_eq_u32_e32 0, v4
	s_cbranch_execz .LBB0_98
; %bb.97:                               ;   in Loop: Header=BB0_35 Depth=1
	s_bcnt1_i32_b32 s13, s13
	v_mov_b32_e32 v6, s13
	s_waitcnt vmcnt(0)
	global_atomic_add_x2 v[2:3], v[6:7], off offset:8
.LBB0_98:                               ;   in Loop: Header=BB0_35 Depth=1
	s_or_b32 exec_lo, exec_lo, s12
	s_waitcnt vmcnt(0)
	global_load_dwordx2 v[4:5], v[2:3], off offset:16
	s_waitcnt vmcnt(0)
	v_cmp_eq_u64_e32 vcc_lo, 0, v[4:5]
	s_cbranch_vccnz .LBB0_100
; %bb.99:                               ;   in Loop: Header=BB0_35 Depth=1
	global_load_dword v6, v[2:3], off offset:24
	s_waitcnt vmcnt(0)
	v_readfirstlane_b32 s12, v6
	s_waitcnt_vscnt null, 0x0
	global_store_dwordx2 v[4:5], v[6:7], off
	s_and_b32 m0, s12, 0x7fffff
	s_sendmsg sendmsg(MSG_INTERRUPT)
.LBB0_100:                              ;   in Loop: Header=BB0_35 Depth=1
	s_or_b32 exec_lo, exec_lo, s1
	v_add_co_u32 v2, vcc_lo, v24, v30
	v_add_co_ci_u32_e64 v3, null, 0, v25, vcc_lo
	s_branch .LBB0_104
	.p2align	6
.LBB0_101:                              ;   in Loop: Header=BB0_104 Depth=2
	s_or_b32 exec_lo, exec_lo, s1
	v_readfirstlane_b32 s1, v4
	s_cmp_eq_u32 s1, 0
	s_cbranch_scc1 .LBB0_103
; %bb.102:                              ;   in Loop: Header=BB0_104 Depth=2
	s_sleep 1
	s_cbranch_execnz .LBB0_104
	s_branch .LBB0_106
	.p2align	6
.LBB0_103:                              ;   in Loop: Header=BB0_35 Depth=1
	s_branch .LBB0_106
.LBB0_104:                              ;   Parent Loop BB0_35 Depth=1
                                        ; =>  This Inner Loop Header: Depth=2
	v_mov_b32_e32 v4, 1
	s_and_saveexec_b32 s1, s0
	s_cbranch_execz .LBB0_101
; %bb.105:                              ;   in Loop: Header=BB0_104 Depth=2
	global_load_dword v4, v[27:28], off offset:20 glc dlc
	s_waitcnt vmcnt(0)
	buffer_gl1_inv
	buffer_gl0_inv
	v_and_b32_e32 v4, 1, v4
	s_branch .LBB0_101
.LBB0_106:                              ;   in Loop: Header=BB0_35 Depth=1
	global_load_dwordx2 v[2:3], v[2:3], off
	s_and_saveexec_b32 s12, s0
	s_cbranch_execz .LBB0_34
; %bb.107:                              ;   in Loop: Header=BB0_35 Depth=1
	s_clause 0x2
	global_load_dwordx2 v[4:5], v7, s[2:3] offset:40
	global_load_dwordx2 v[14:15], v7, s[2:3] offset:24 glc dlc
	global_load_dwordx2 v[10:11], v7, s[2:3]
	s_waitcnt vmcnt(2)
	v_readfirstlane_b32 s14, v4
	v_readfirstlane_b32 s15, v5
	s_add_u32 s13, s14, 1
	s_addc_u32 s16, s15, 0
	s_add_u32 s0, s13, s10
	s_addc_u32 s1, s16, s11
	s_cmp_eq_u64 s[0:1], 0
	s_cselect_b32 s1, s16, s1
	s_cselect_b32 s0, s13, s0
	v_mov_b32_e32 v13, s1
	s_and_b64 s[10:11], s[0:1], s[14:15]
	v_mov_b32_e32 v12, s0
	s_mul_i32 s11, s11, 24
	s_mul_hi_u32 s13, s10, 24
	s_mul_i32 s10, s10, 24
	s_add_i32 s13, s13, s11
	s_waitcnt vmcnt(0)
	v_add_co_u32 v4, vcc_lo, v10, s10
	v_add_co_ci_u32_e64 v5, null, s13, v11, vcc_lo
	global_store_dwordx2 v[4:5], v[14:15], off
	s_waitcnt_vscnt null, 0x0
	global_atomic_cmpswap_x2 v[12:13], v7, v[12:15], s[2:3] offset:24 glc
	s_waitcnt vmcnt(0)
	v_cmp_ne_u64_e32 vcc_lo, v[12:13], v[14:15]
	s_and_b32 exec_lo, exec_lo, vcc_lo
	s_cbranch_execz .LBB0_34
; %bb.108:                              ;   in Loop: Header=BB0_35 Depth=1
	s_mov_b32 s10, 0
.LBB0_109:                              ;   Parent Loop BB0_35 Depth=1
                                        ; =>  This Inner Loop Header: Depth=2
	v_mov_b32_e32 v10, s0
	v_mov_b32_e32 v11, s1
	s_sleep 1
	global_store_dwordx2 v[4:5], v[12:13], off
	s_waitcnt_vscnt null, 0x0
	global_atomic_cmpswap_x2 v[10:11], v7, v[10:13], s[2:3] offset:24 glc
	s_waitcnt vmcnt(0)
	v_cmp_eq_u64_e32 vcc_lo, v[10:11], v[12:13]
	v_mov_b32_e32 v13, v11
	v_mov_b32_e32 v12, v10
	s_or_b32 s10, vcc_lo, s10
	s_andn2_b32 exec_lo, exec_lo, s10
	s_cbranch_execnz .LBB0_109
	s_branch .LBB0_34
.LBB0_110:
	s_branch .LBB0_139
.LBB0_111:
                                        ; implicit-def: $vgpr2_vgpr3
	s_cbranch_execz .LBB0_139
; %bb.112:
	v_readfirstlane_b32 s0, v31
	v_mov_b32_e32 v8, 0
	v_mov_b32_e32 v9, 0
	v_cmp_eq_u32_e64 s0, s0, v31
	s_and_saveexec_b32 s1, s0
	s_cbranch_execz .LBB0_118
; %bb.113:
	s_waitcnt vmcnt(0)
	v_mov_b32_e32 v2, 0
	s_mov_b32 s4, exec_lo
	global_load_dwordx2 v[5:6], v2, s[2:3] offset:24 glc dlc
	s_waitcnt vmcnt(0)
	buffer_gl1_inv
	buffer_gl0_inv
	s_clause 0x1
	global_load_dwordx2 v[3:4], v2, s[2:3] offset:40
	global_load_dwordx2 v[7:8], v2, s[2:3]
	s_waitcnt vmcnt(1)
	v_and_b32_e32 v4, v4, v6
	v_and_b32_e32 v3, v3, v5
	v_mul_lo_u32 v4, v4, 24
	v_mul_hi_u32 v9, v3, 24
	v_mul_lo_u32 v3, v3, 24
	v_add_nc_u32_e32 v4, v9, v4
	s_waitcnt vmcnt(0)
	v_add_co_u32 v3, vcc_lo, v7, v3
	v_add_co_ci_u32_e64 v4, null, v8, v4, vcc_lo
	global_load_dwordx2 v[3:4], v[3:4], off glc dlc
	s_waitcnt vmcnt(0)
	global_atomic_cmpswap_x2 v[8:9], v2, v[3:6], s[2:3] offset:24 glc
	s_waitcnt vmcnt(0)
	buffer_gl1_inv
	buffer_gl0_inv
	v_cmpx_ne_u64_e64 v[8:9], v[5:6]
	s_cbranch_execz .LBB0_117
; %bb.114:
	s_mov_b32 s5, 0
	.p2align	6
.LBB0_115:                              ; =>This Inner Loop Header: Depth=1
	s_sleep 1
	s_clause 0x1
	global_load_dwordx2 v[3:4], v2, s[2:3] offset:40
	global_load_dwordx2 v[10:11], v2, s[2:3]
	v_mov_b32_e32 v5, v8
	v_mov_b32_e32 v6, v9
	s_waitcnt vmcnt(1)
	v_and_b32_e32 v3, v3, v5
	v_and_b32_e32 v4, v4, v6
	s_waitcnt vmcnt(0)
	v_mad_u64_u32 v[7:8], null, v3, 24, v[10:11]
	v_mov_b32_e32 v3, v8
	v_mad_u64_u32 v[3:4], null, v4, 24, v[3:4]
	v_mov_b32_e32 v8, v3
	global_load_dwordx2 v[3:4], v[7:8], off glc dlc
	s_waitcnt vmcnt(0)
	global_atomic_cmpswap_x2 v[8:9], v2, v[3:6], s[2:3] offset:24 glc
	s_waitcnt vmcnt(0)
	buffer_gl1_inv
	buffer_gl0_inv
	v_cmp_eq_u64_e32 vcc_lo, v[8:9], v[5:6]
	s_or_b32 s5, vcc_lo, s5
	s_andn2_b32 exec_lo, exec_lo, s5
	s_cbranch_execnz .LBB0_115
; %bb.116:
	s_or_b32 exec_lo, exec_lo, s5
.LBB0_117:
	s_or_b32 exec_lo, exec_lo, s4
.LBB0_118:
	s_or_b32 exec_lo, exec_lo, s1
	s_waitcnt vmcnt(0)
	v_mov_b32_e32 v2, 0
	v_readfirstlane_b32 s5, v9
	v_readfirstlane_b32 s4, v8
	s_mov_b32 s1, exec_lo
	s_clause 0x1
	global_load_dwordx2 v[10:11], v2, s[2:3] offset:40
	global_load_dwordx4 v[4:7], v2, s[2:3]
	s_waitcnt vmcnt(1)
	v_readfirstlane_b32 s6, v10
	v_readfirstlane_b32 s7, v11
	s_and_b64 s[6:7], s[6:7], s[4:5]
	s_mul_i32 s8, s7, 24
	s_mul_hi_u32 s9, s6, 24
	s_mul_i32 s10, s6, 24
	s_add_i32 s9, s9, s8
	s_waitcnt vmcnt(0)
	v_add_co_u32 v8, vcc_lo, v4, s10
	v_add_co_ci_u32_e64 v9, null, s9, v5, vcc_lo
	s_and_saveexec_b32 s8, s0
	s_cbranch_execz .LBB0_120
; %bb.119:
	v_mov_b32_e32 v10, s1
	v_mov_b32_e32 v11, v2
	;; [unrolled: 1-line block ×4, first 2 shown]
	global_store_dwordx4 v[8:9], v[10:13], off offset:8
.LBB0_120:
	s_or_b32 exec_lo, exec_lo, s8
	s_lshl_b64 s[6:7], s[6:7], 12
	s_mov_b32 s8, 0
	v_add_co_u32 v6, vcc_lo, v6, s6
	v_add_co_ci_u32_e64 v7, null, s7, v7, vcc_lo
	s_mov_b32 s11, s8
	v_readfirstlane_b32 s6, v6
	v_add_co_u32 v6, vcc_lo, v6, v30
	s_mov_b32 s9, s8
	s_mov_b32 s10, s8
	v_and_or_b32 v0, 0xffffff1f, v0, 32
	v_mov_b32_e32 v3, v2
	v_readfirstlane_b32 s7, v7
	v_mov_b32_e32 v13, s11
	v_add_co_ci_u32_e64 v7, null, 0, v7, vcc_lo
	v_mov_b32_e32 v12, s10
	v_mov_b32_e32 v11, s9
	;; [unrolled: 1-line block ×3, first 2 shown]
	global_store_dwordx4 v30, v[0:3], s[6:7]
	global_store_dwordx4 v30, v[10:13], s[6:7] offset:16
	global_store_dwordx4 v30, v[10:13], s[6:7] offset:32
	;; [unrolled: 1-line block ×3, first 2 shown]
	s_and_saveexec_b32 s1, s0
	s_cbranch_execz .LBB0_128
; %bb.121:
	v_mov_b32_e32 v10, 0
	v_mov_b32_e32 v11, s4
	;; [unrolled: 1-line block ×3, first 2 shown]
	s_clause 0x1
	global_load_dwordx2 v[13:14], v10, s[2:3] offset:32 glc dlc
	global_load_dwordx2 v[0:1], v10, s[2:3] offset:40
	s_waitcnt vmcnt(0)
	v_readfirstlane_b32 s6, v0
	v_readfirstlane_b32 s7, v1
	s_and_b64 s[6:7], s[6:7], s[4:5]
	s_mul_i32 s7, s7, 24
	s_mul_hi_u32 s8, s6, 24
	s_mul_i32 s6, s6, 24
	s_add_i32 s8, s8, s7
	v_add_co_u32 v4, vcc_lo, v4, s6
	v_add_co_ci_u32_e64 v5, null, s8, v5, vcc_lo
	s_mov_b32 s6, exec_lo
	global_store_dwordx2 v[4:5], v[13:14], off
	s_waitcnt_vscnt null, 0x0
	global_atomic_cmpswap_x2 v[2:3], v10, v[11:14], s[2:3] offset:32 glc
	s_waitcnt vmcnt(0)
	v_cmpx_ne_u64_e64 v[2:3], v[13:14]
	s_cbranch_execz .LBB0_124
; %bb.122:
	s_mov_b32 s7, 0
.LBB0_123:                              ; =>This Inner Loop Header: Depth=1
	v_mov_b32_e32 v0, s4
	v_mov_b32_e32 v1, s5
	s_sleep 1
	global_store_dwordx2 v[4:5], v[2:3], off
	s_waitcnt_vscnt null, 0x0
	global_atomic_cmpswap_x2 v[0:1], v10, v[0:3], s[2:3] offset:32 glc
	s_waitcnt vmcnt(0)
	v_cmp_eq_u64_e32 vcc_lo, v[0:1], v[2:3]
	v_mov_b32_e32 v3, v1
	v_mov_b32_e32 v2, v0
	s_or_b32 s7, vcc_lo, s7
	s_andn2_b32 exec_lo, exec_lo, s7
	s_cbranch_execnz .LBB0_123
.LBB0_124:
	s_or_b32 exec_lo, exec_lo, s6
	v_mov_b32_e32 v3, 0
	s_mov_b32 s7, exec_lo
	s_mov_b32 s6, exec_lo
	v_mbcnt_lo_u32_b32 v2, s7, 0
	global_load_dwordx2 v[0:1], v3, s[2:3] offset:16
	v_cmpx_eq_u32_e32 0, v2
	s_cbranch_execz .LBB0_126
; %bb.125:
	s_bcnt1_i32_b32 s7, s7
	v_mov_b32_e32 v2, s7
	s_waitcnt vmcnt(0)
	global_atomic_add_x2 v[0:1], v[2:3], off offset:8
.LBB0_126:
	s_or_b32 exec_lo, exec_lo, s6
	s_waitcnt vmcnt(0)
	global_load_dwordx2 v[2:3], v[0:1], off offset:16
	s_waitcnt vmcnt(0)
	v_cmp_eq_u64_e32 vcc_lo, 0, v[2:3]
	s_cbranch_vccnz .LBB0_128
; %bb.127:
	global_load_dword v0, v[0:1], off offset:24
	v_mov_b32_e32 v1, 0
	s_waitcnt vmcnt(0)
	v_readfirstlane_b32 s6, v0
	s_waitcnt_vscnt null, 0x0
	global_store_dwordx2 v[2:3], v[0:1], off
	s_and_b32 m0, s6, 0x7fffff
	s_sendmsg sendmsg(MSG_INTERRUPT)
.LBB0_128:
	s_or_b32 exec_lo, exec_lo, s1
	s_branch .LBB0_132
	.p2align	6
.LBB0_129:                              ;   in Loop: Header=BB0_132 Depth=1
	s_or_b32 exec_lo, exec_lo, s1
	v_readfirstlane_b32 s1, v0
	s_cmp_eq_u32 s1, 0
	s_cbranch_scc1 .LBB0_131
; %bb.130:                              ;   in Loop: Header=BB0_132 Depth=1
	s_sleep 1
	s_cbranch_execnz .LBB0_132
	s_branch .LBB0_134
	.p2align	6
.LBB0_131:
	s_branch .LBB0_134
.LBB0_132:                              ; =>This Inner Loop Header: Depth=1
	v_mov_b32_e32 v0, 1
	s_and_saveexec_b32 s1, s0
	s_cbranch_execz .LBB0_129
; %bb.133:                              ;   in Loop: Header=BB0_132 Depth=1
	global_load_dword v0, v[8:9], off offset:20 glc dlc
	s_waitcnt vmcnt(0)
	buffer_gl1_inv
	buffer_gl0_inv
	v_and_b32_e32 v0, 1, v0
	s_branch .LBB0_129
.LBB0_134:
	global_load_dwordx2 v[2:3], v[6:7], off
	s_and_saveexec_b32 s6, s0
	s_cbranch_execz .LBB0_138
; %bb.135:
	v_mov_b32_e32 v8, 0
	s_clause 0x2
	global_load_dwordx2 v[0:1], v8, s[2:3] offset:40
	global_load_dwordx2 v[11:12], v8, s[2:3] offset:24 glc dlc
	global_load_dwordx2 v[4:5], v8, s[2:3]
	s_waitcnt vmcnt(2)
	v_readfirstlane_b32 s8, v0
	v_readfirstlane_b32 s9, v1
	s_add_u32 s7, s8, 1
	s_addc_u32 s10, s9, 0
	s_add_u32 s0, s7, s4
	s_addc_u32 s1, s10, s5
	s_cmp_eq_u64 s[0:1], 0
	s_cselect_b32 s1, s10, s1
	s_cselect_b32 s0, s7, s0
	v_mov_b32_e32 v10, s1
	s_and_b64 s[4:5], s[0:1], s[8:9]
	v_mov_b32_e32 v9, s0
	s_mul_i32 s5, s5, 24
	s_mul_hi_u32 s7, s4, 24
	s_mul_i32 s4, s4, 24
	s_add_i32 s7, s7, s5
	s_waitcnt vmcnt(0)
	v_add_co_u32 v0, vcc_lo, v4, s4
	v_add_co_ci_u32_e64 v1, null, s7, v5, vcc_lo
	global_store_dwordx2 v[0:1], v[11:12], off
	s_waitcnt_vscnt null, 0x0
	global_atomic_cmpswap_x2 v[6:7], v8, v[9:12], s[2:3] offset:24 glc
	s_waitcnt vmcnt(0)
	v_cmp_ne_u64_e32 vcc_lo, v[6:7], v[11:12]
	s_and_b32 exec_lo, exec_lo, vcc_lo
	s_cbranch_execz .LBB0_138
; %bb.136:
	s_mov_b32 s4, 0
.LBB0_137:                              ; =>This Inner Loop Header: Depth=1
	v_mov_b32_e32 v4, s0
	v_mov_b32_e32 v5, s1
	s_sleep 1
	global_store_dwordx2 v[0:1], v[6:7], off
	s_waitcnt_vscnt null, 0x0
	global_atomic_cmpswap_x2 v[4:5], v8, v[4:7], s[2:3] offset:24 glc
	s_waitcnt vmcnt(0)
	v_cmp_eq_u64_e32 vcc_lo, v[4:5], v[6:7]
	v_mov_b32_e32 v7, v5
	v_mov_b32_e32 v6, v4
	s_or_b32 s4, vcc_lo, s4
	s_andn2_b32 exec_lo, exec_lo, s4
	s_cbranch_execnz .LBB0_137
.LBB0_138:
	s_or_b32 exec_lo, exec_lo, s6
.LBB0_139:
	v_readfirstlane_b32 s0, v31
	s_waitcnt vmcnt(0)
	v_mov_b32_e32 v0, 0
	v_mov_b32_e32 v1, 0
	v_cmp_eq_u32_e64 s0, s0, v31
	s_and_saveexec_b32 s1, s0
	s_cbranch_execz .LBB0_145
; %bb.140:
	v_mov_b32_e32 v4, 0
	s_mov_b32 s4, exec_lo
	global_load_dwordx2 v[7:8], v4, s[2:3] offset:24 glc dlc
	s_waitcnt vmcnt(0)
	buffer_gl1_inv
	buffer_gl0_inv
	s_clause 0x1
	global_load_dwordx2 v[0:1], v4, s[2:3] offset:40
	global_load_dwordx2 v[5:6], v4, s[2:3]
	s_waitcnt vmcnt(1)
	v_and_b32_e32 v1, v1, v8
	v_and_b32_e32 v0, v0, v7
	v_mul_lo_u32 v1, v1, 24
	v_mul_hi_u32 v9, v0, 24
	v_mul_lo_u32 v0, v0, 24
	v_add_nc_u32_e32 v1, v9, v1
	s_waitcnt vmcnt(0)
	v_add_co_u32 v0, vcc_lo, v5, v0
	v_add_co_ci_u32_e64 v1, null, v6, v1, vcc_lo
	global_load_dwordx2 v[5:6], v[0:1], off glc dlc
	s_waitcnt vmcnt(0)
	global_atomic_cmpswap_x2 v[0:1], v4, v[5:8], s[2:3] offset:24 glc
	s_waitcnt vmcnt(0)
	buffer_gl1_inv
	buffer_gl0_inv
	v_cmpx_ne_u64_e64 v[0:1], v[7:8]
	s_cbranch_execz .LBB0_144
; %bb.141:
	s_mov_b32 s5, 0
	.p2align	6
.LBB0_142:                              ; =>This Inner Loop Header: Depth=1
	s_sleep 1
	s_clause 0x1
	global_load_dwordx2 v[5:6], v4, s[2:3] offset:40
	global_load_dwordx2 v[9:10], v4, s[2:3]
	v_mov_b32_e32 v8, v1
	v_mov_b32_e32 v7, v0
	s_waitcnt vmcnt(1)
	v_and_b32_e32 v0, v5, v7
	v_and_b32_e32 v5, v6, v8
	s_waitcnt vmcnt(0)
	v_mad_u64_u32 v[0:1], null, v0, 24, v[9:10]
	v_mad_u64_u32 v[5:6], null, v5, 24, v[1:2]
	v_mov_b32_e32 v1, v5
	global_load_dwordx2 v[5:6], v[0:1], off glc dlc
	s_waitcnt vmcnt(0)
	global_atomic_cmpswap_x2 v[0:1], v4, v[5:8], s[2:3] offset:24 glc
	s_waitcnt vmcnt(0)
	buffer_gl1_inv
	buffer_gl0_inv
	v_cmp_eq_u64_e32 vcc_lo, v[0:1], v[7:8]
	s_or_b32 s5, vcc_lo, s5
	s_andn2_b32 exec_lo, exec_lo, s5
	s_cbranch_execnz .LBB0_142
; %bb.143:
	s_or_b32 exec_lo, exec_lo, s5
.LBB0_144:
	s_or_b32 exec_lo, exec_lo, s4
.LBB0_145:
	s_or_b32 exec_lo, exec_lo, s1
	v_mov_b32_e32 v5, 0
	v_readfirstlane_b32 s5, v1
	v_readfirstlane_b32 s4, v0
	s_mov_b32 s1, exec_lo
	s_clause 0x1
	global_load_dwordx2 v[10:11], v5, s[2:3] offset:40
	global_load_dwordx4 v[6:9], v5, s[2:3]
	s_waitcnt vmcnt(1)
	v_readfirstlane_b32 s6, v10
	v_readfirstlane_b32 s7, v11
	s_and_b64 s[6:7], s[6:7], s[4:5]
	s_mul_i32 s8, s7, 24
	s_mul_hi_u32 s9, s6, 24
	s_mul_i32 s10, s6, 24
	s_add_i32 s9, s9, s8
	s_waitcnt vmcnt(0)
	v_add_co_u32 v10, vcc_lo, v6, s10
	v_add_co_ci_u32_e64 v11, null, s9, v7, vcc_lo
	s_and_saveexec_b32 s8, s0
	s_cbranch_execz .LBB0_147
; %bb.146:
	v_mov_b32_e32 v4, s1
	v_mov_b32_e32 v13, v5
	;; [unrolled: 1-line block ×5, first 2 shown]
	global_store_dwordx4 v[10:11], v[12:15], off offset:8
.LBB0_147:
	s_or_b32 exec_lo, exec_lo, s8
	s_lshl_b64 s[6:7], s[6:7], 12
	s_mov_b32 s8, 0
	v_add_co_u32 v0, vcc_lo, v8, s6
	v_add_co_ci_u32_e64 v1, null, s7, v9, vcc_lo
	s_mov_b32 s11, s8
	v_add_co_u32 v8, vcc_lo, v0, v30
	s_mov_b32 s9, s8
	s_mov_b32 s10, s8
	v_and_or_b32 v2, 0xffffff1f, v2, 32
	v_mov_b32_e32 v4, v26
	v_readfirstlane_b32 s6, v0
	v_readfirstlane_b32 s7, v1
	v_mov_b32_e32 v15, s11
	v_add_co_ci_u32_e64 v9, null, 0, v1, vcc_lo
	v_mov_b32_e32 v14, s10
	v_mov_b32_e32 v13, s9
	v_mov_b32_e32 v12, s8
	global_store_dwordx4 v30, v[2:5], s[6:7]
	global_store_dwordx4 v30, v[12:15], s[6:7] offset:16
	global_store_dwordx4 v30, v[12:15], s[6:7] offset:32
	;; [unrolled: 1-line block ×3, first 2 shown]
	s_and_saveexec_b32 s1, s0
	s_cbranch_execz .LBB0_155
; %bb.148:
	v_mov_b32_e32 v12, 0
	v_mov_b32_e32 v13, s4
	;; [unrolled: 1-line block ×3, first 2 shown]
	s_clause 0x1
	global_load_dwordx2 v[15:16], v12, s[2:3] offset:32 glc dlc
	global_load_dwordx2 v[0:1], v12, s[2:3] offset:40
	s_waitcnt vmcnt(0)
	v_readfirstlane_b32 s6, v0
	v_readfirstlane_b32 s7, v1
	s_and_b64 s[6:7], s[6:7], s[4:5]
	s_mul_i32 s7, s7, 24
	s_mul_hi_u32 s8, s6, 24
	s_mul_i32 s6, s6, 24
	s_add_i32 s8, s8, s7
	v_add_co_u32 v4, vcc_lo, v6, s6
	v_add_co_ci_u32_e64 v5, null, s8, v7, vcc_lo
	s_mov_b32 s6, exec_lo
	global_store_dwordx2 v[4:5], v[15:16], off
	s_waitcnt_vscnt null, 0x0
	global_atomic_cmpswap_x2 v[2:3], v12, v[13:16], s[2:3] offset:32 glc
	s_waitcnt vmcnt(0)
	v_cmpx_ne_u64_e64 v[2:3], v[15:16]
	s_cbranch_execz .LBB0_151
; %bb.149:
	s_mov_b32 s7, 0
.LBB0_150:                              ; =>This Inner Loop Header: Depth=1
	v_mov_b32_e32 v0, s4
	v_mov_b32_e32 v1, s5
	s_sleep 1
	global_store_dwordx2 v[4:5], v[2:3], off
	s_waitcnt_vscnt null, 0x0
	global_atomic_cmpswap_x2 v[0:1], v12, v[0:3], s[2:3] offset:32 glc
	s_waitcnt vmcnt(0)
	v_cmp_eq_u64_e32 vcc_lo, v[0:1], v[2:3]
	v_mov_b32_e32 v3, v1
	v_mov_b32_e32 v2, v0
	s_or_b32 s7, vcc_lo, s7
	s_andn2_b32 exec_lo, exec_lo, s7
	s_cbranch_execnz .LBB0_150
.LBB0_151:
	s_or_b32 exec_lo, exec_lo, s6
	v_mov_b32_e32 v3, 0
	s_mov_b32 s7, exec_lo
	s_mov_b32 s6, exec_lo
	v_mbcnt_lo_u32_b32 v2, s7, 0
	global_load_dwordx2 v[0:1], v3, s[2:3] offset:16
	v_cmpx_eq_u32_e32 0, v2
	s_cbranch_execz .LBB0_153
; %bb.152:
	s_bcnt1_i32_b32 s7, s7
	v_mov_b32_e32 v2, s7
	s_waitcnt vmcnt(0)
	global_atomic_add_x2 v[0:1], v[2:3], off offset:8
.LBB0_153:
	s_or_b32 exec_lo, exec_lo, s6
	s_waitcnt vmcnt(0)
	global_load_dwordx2 v[2:3], v[0:1], off offset:16
	s_waitcnt vmcnt(0)
	v_cmp_eq_u64_e32 vcc_lo, 0, v[2:3]
	s_cbranch_vccnz .LBB0_155
; %bb.154:
	global_load_dword v0, v[0:1], off offset:24
	v_mov_b32_e32 v1, 0
	s_waitcnt vmcnt(0)
	v_readfirstlane_b32 s6, v0
	s_waitcnt_vscnt null, 0x0
	global_store_dwordx2 v[2:3], v[0:1], off
	s_and_b32 m0, s6, 0x7fffff
	s_sendmsg sendmsg(MSG_INTERRUPT)
.LBB0_155:
	s_or_b32 exec_lo, exec_lo, s1
	s_branch .LBB0_159
	.p2align	6
.LBB0_156:                              ;   in Loop: Header=BB0_159 Depth=1
	s_or_b32 exec_lo, exec_lo, s1
	v_readfirstlane_b32 s1, v0
	s_cmp_eq_u32 s1, 0
	s_cbranch_scc1 .LBB0_158
; %bb.157:                              ;   in Loop: Header=BB0_159 Depth=1
	s_sleep 1
	s_cbranch_execnz .LBB0_159
	s_branch .LBB0_161
	.p2align	6
.LBB0_158:
	s_branch .LBB0_161
.LBB0_159:                              ; =>This Inner Loop Header: Depth=1
	v_mov_b32_e32 v0, 1
	s_and_saveexec_b32 s1, s0
	s_cbranch_execz .LBB0_156
; %bb.160:                              ;   in Loop: Header=BB0_159 Depth=1
	global_load_dword v0, v[10:11], off offset:20 glc dlc
	s_waitcnt vmcnt(0)
	buffer_gl1_inv
	buffer_gl0_inv
	v_and_b32_e32 v0, 1, v0
	s_branch .LBB0_156
.LBB0_161:
	global_load_dwordx2 v[0:1], v[8:9], off
	s_and_saveexec_b32 s6, s0
	s_cbranch_execz .LBB0_165
; %bb.162:
	v_mov_b32_e32 v8, 0
	s_clause 0x2
	global_load_dwordx2 v[2:3], v8, s[2:3] offset:40
	global_load_dwordx2 v[11:12], v8, s[2:3] offset:24 glc dlc
	global_load_dwordx2 v[4:5], v8, s[2:3]
	s_waitcnt vmcnt(2)
	v_readfirstlane_b32 s8, v2
	v_readfirstlane_b32 s9, v3
	s_add_u32 s7, s8, 1
	s_addc_u32 s10, s9, 0
	s_add_u32 s0, s7, s4
	s_addc_u32 s1, s10, s5
	s_cmp_eq_u64 s[0:1], 0
	s_cselect_b32 s1, s10, s1
	s_cselect_b32 s0, s7, s0
	v_mov_b32_e32 v10, s1
	s_and_b64 s[4:5], s[0:1], s[8:9]
	v_mov_b32_e32 v9, s0
	s_mul_i32 s5, s5, 24
	s_mul_hi_u32 s7, s4, 24
	s_mul_i32 s4, s4, 24
	s_add_i32 s7, s7, s5
	s_waitcnt vmcnt(0)
	v_add_co_u32 v6, vcc_lo, v4, s4
	v_add_co_ci_u32_e64 v7, null, s7, v5, vcc_lo
	global_store_dwordx2 v[6:7], v[11:12], off
	s_waitcnt_vscnt null, 0x0
	global_atomic_cmpswap_x2 v[4:5], v8, v[9:12], s[2:3] offset:24 glc
	s_waitcnt vmcnt(0)
	v_cmp_ne_u64_e32 vcc_lo, v[4:5], v[11:12]
	s_and_b32 exec_lo, exec_lo, vcc_lo
	s_cbranch_execz .LBB0_165
; %bb.163:
	s_mov_b32 s4, 0
.LBB0_164:                              ; =>This Inner Loop Header: Depth=1
	v_mov_b32_e32 v2, s0
	v_mov_b32_e32 v3, s1
	s_sleep 1
	global_store_dwordx2 v[6:7], v[4:5], off
	s_waitcnt_vscnt null, 0x0
	global_atomic_cmpswap_x2 v[2:3], v8, v[2:5], s[2:3] offset:24 glc
	s_waitcnt vmcnt(0)
	v_cmp_eq_u64_e32 vcc_lo, v[2:3], v[4:5]
	v_mov_b32_e32 v5, v3
	v_mov_b32_e32 v4, v2
	s_or_b32 s4, vcc_lo, s4
	s_andn2_b32 exec_lo, exec_lo, s4
	s_cbranch_execnz .LBB0_164
.LBB0_165:
	s_or_b32 exec_lo, exec_lo, s6
	v_readfirstlane_b32 s0, v31
	v_mov_b32_e32 v2, 0
	v_mov_b32_e32 v3, 0
	v_cmp_eq_u32_e64 s0, s0, v31
	s_and_saveexec_b32 s1, s0
	s_cbranch_execz .LBB0_171
; %bb.166:
	v_mov_b32_e32 v4, 0
	s_mov_b32 s4, exec_lo
	global_load_dwordx2 v[7:8], v4, s[2:3] offset:24 glc dlc
	s_waitcnt vmcnt(0)
	buffer_gl1_inv
	buffer_gl0_inv
	s_clause 0x1
	global_load_dwordx2 v[2:3], v4, s[2:3] offset:40
	global_load_dwordx2 v[5:6], v4, s[2:3]
	s_waitcnt vmcnt(1)
	v_and_b32_e32 v3, v3, v8
	v_and_b32_e32 v2, v2, v7
	v_mul_lo_u32 v3, v3, 24
	v_mul_hi_u32 v9, v2, 24
	v_mul_lo_u32 v2, v2, 24
	v_add_nc_u32_e32 v3, v9, v3
	s_waitcnt vmcnt(0)
	v_add_co_u32 v2, vcc_lo, v5, v2
	v_add_co_ci_u32_e64 v3, null, v6, v3, vcc_lo
	global_load_dwordx2 v[5:6], v[2:3], off glc dlc
	s_waitcnt vmcnt(0)
	global_atomic_cmpswap_x2 v[2:3], v4, v[5:8], s[2:3] offset:24 glc
	s_waitcnt vmcnt(0)
	buffer_gl1_inv
	buffer_gl0_inv
	v_cmpx_ne_u64_e64 v[2:3], v[7:8]
	s_cbranch_execz .LBB0_170
; %bb.167:
	s_mov_b32 s5, 0
	.p2align	6
.LBB0_168:                              ; =>This Inner Loop Header: Depth=1
	s_sleep 1
	s_clause 0x1
	global_load_dwordx2 v[5:6], v4, s[2:3] offset:40
	global_load_dwordx2 v[9:10], v4, s[2:3]
	v_mov_b32_e32 v8, v3
	v_mov_b32_e32 v7, v2
	s_waitcnt vmcnt(1)
	v_and_b32_e32 v2, v5, v7
	v_and_b32_e32 v5, v6, v8
	s_waitcnt vmcnt(0)
	v_mad_u64_u32 v[2:3], null, v2, 24, v[9:10]
	v_mad_u64_u32 v[5:6], null, v5, 24, v[3:4]
	v_mov_b32_e32 v3, v5
	global_load_dwordx2 v[5:6], v[2:3], off glc dlc
	s_waitcnt vmcnt(0)
	global_atomic_cmpswap_x2 v[2:3], v4, v[5:8], s[2:3] offset:24 glc
	s_waitcnt vmcnt(0)
	buffer_gl1_inv
	buffer_gl0_inv
	v_cmp_eq_u64_e32 vcc_lo, v[2:3], v[7:8]
	s_or_b32 s5, vcc_lo, s5
	s_andn2_b32 exec_lo, exec_lo, s5
	s_cbranch_execnz .LBB0_168
; %bb.169:
	s_or_b32 exec_lo, exec_lo, s5
.LBB0_170:
	s_or_b32 exec_lo, exec_lo, s4
.LBB0_171:
	s_or_b32 exec_lo, exec_lo, s1
	v_mov_b32_e32 v9, 0
	v_readfirstlane_b32 s5, v3
	v_readfirstlane_b32 s4, v2
	s_mov_b32 s1, exec_lo
	s_clause 0x1
	global_load_dwordx2 v[10:11], v9, s[2:3] offset:40
	global_load_dwordx4 v[4:7], v9, s[2:3]
	s_waitcnt vmcnt(1)
	v_readfirstlane_b32 s6, v10
	v_readfirstlane_b32 s7, v11
	s_and_b64 s[6:7], s[6:7], s[4:5]
	s_mul_i32 s8, s7, 24
	s_mul_hi_u32 s9, s6, 24
	s_mul_i32 s10, s6, 24
	s_add_i32 s9, s9, s8
	s_waitcnt vmcnt(0)
	v_add_co_u32 v12, vcc_lo, v4, s10
	v_add_co_ci_u32_e64 v13, null, s9, v5, vcc_lo
	s_and_saveexec_b32 s8, s0
	s_cbranch_execz .LBB0_173
; %bb.172:
	v_mov_b32_e32 v8, s1
	v_mov_b32_e32 v10, 2
	;; [unrolled: 1-line block ×3, first 2 shown]
	global_store_dwordx4 v[12:13], v[8:11], off offset:8
.LBB0_173:
	s_or_b32 exec_lo, exec_lo, s8
	v_cvt_f64_f32_e32 v[2:3], v33
	s_lshl_b64 s[6:7], s[6:7], 12
	s_mov_b32 s8, 0
	v_add_co_u32 v6, vcc_lo, v6, s6
	v_add_co_ci_u32_e64 v7, null, s7, v7, vcc_lo
	s_mov_b32 s9, s8
	s_mov_b32 s10, s8
	;; [unrolled: 1-line block ×3, first 2 shown]
	v_readfirstlane_b32 s6, v6
	v_add_co_u32 v6, vcc_lo, v6, v30
	v_mov_b32_e32 v8, s8
	v_mov_b32_e32 v9, s9
	;; [unrolled: 1-line block ×4, first 2 shown]
	v_readfirstlane_b32 s7, v7
	v_add_co_ci_u32_e64 v7, null, 0, v7, vcc_lo
	v_and_or_b32 v0, 0xffffff1f, v0, 32
	global_store_dwordx4 v30, v[8:11], s[6:7] offset:16
	global_store_dwordx4 v30, v[8:11], s[6:7] offset:32
	global_store_dwordx4 v30, v[0:3], s[6:7]
	global_store_dwordx4 v30, v[8:11], s[6:7] offset:48
	s_and_saveexec_b32 s1, s0
	s_cbranch_execz .LBB0_181
; %bb.174:
	v_mov_b32_e32 v8, 0
	v_mov_b32_e32 v14, s4
	;; [unrolled: 1-line block ×3, first 2 shown]
	s_clause 0x1
	global_load_dwordx2 v[16:17], v8, s[2:3] offset:32 glc dlc
	global_load_dwordx2 v[0:1], v8, s[2:3] offset:40
	s_waitcnt vmcnt(0)
	v_readfirstlane_b32 s6, v0
	v_readfirstlane_b32 s7, v1
	s_and_b64 s[6:7], s[6:7], s[4:5]
	s_mul_i32 s7, s7, 24
	s_mul_hi_u32 s8, s6, 24
	s_mul_i32 s6, s6, 24
	s_add_i32 s8, s8, s7
	v_add_co_u32 v4, vcc_lo, v4, s6
	v_add_co_ci_u32_e64 v5, null, s8, v5, vcc_lo
	s_mov_b32 s6, exec_lo
	global_store_dwordx2 v[4:5], v[16:17], off
	s_waitcnt_vscnt null, 0x0
	global_atomic_cmpswap_x2 v[2:3], v8, v[14:17], s[2:3] offset:32 glc
	s_waitcnt vmcnt(0)
	v_cmpx_ne_u64_e64 v[2:3], v[16:17]
	s_cbranch_execz .LBB0_177
; %bb.175:
	s_mov_b32 s7, 0
.LBB0_176:                              ; =>This Inner Loop Header: Depth=1
	v_mov_b32_e32 v0, s4
	v_mov_b32_e32 v1, s5
	s_sleep 1
	global_store_dwordx2 v[4:5], v[2:3], off
	s_waitcnt_vscnt null, 0x0
	global_atomic_cmpswap_x2 v[0:1], v8, v[0:3], s[2:3] offset:32 glc
	s_waitcnt vmcnt(0)
	v_cmp_eq_u64_e32 vcc_lo, v[0:1], v[2:3]
	v_mov_b32_e32 v3, v1
	v_mov_b32_e32 v2, v0
	s_or_b32 s7, vcc_lo, s7
	s_andn2_b32 exec_lo, exec_lo, s7
	s_cbranch_execnz .LBB0_176
.LBB0_177:
	s_or_b32 exec_lo, exec_lo, s6
	v_mov_b32_e32 v3, 0
	s_mov_b32 s7, exec_lo
	s_mov_b32 s6, exec_lo
	v_mbcnt_lo_u32_b32 v2, s7, 0
	global_load_dwordx2 v[0:1], v3, s[2:3] offset:16
	v_cmpx_eq_u32_e32 0, v2
	s_cbranch_execz .LBB0_179
; %bb.178:
	s_bcnt1_i32_b32 s7, s7
	v_mov_b32_e32 v2, s7
	s_waitcnt vmcnt(0)
	global_atomic_add_x2 v[0:1], v[2:3], off offset:8
.LBB0_179:
	s_or_b32 exec_lo, exec_lo, s6
	s_waitcnt vmcnt(0)
	global_load_dwordx2 v[2:3], v[0:1], off offset:16
	s_waitcnt vmcnt(0)
	v_cmp_eq_u64_e32 vcc_lo, 0, v[2:3]
	s_cbranch_vccnz .LBB0_181
; %bb.180:
	global_load_dword v0, v[0:1], off offset:24
	v_mov_b32_e32 v1, 0
	s_waitcnt vmcnt(0)
	v_readfirstlane_b32 s6, v0
	s_waitcnt_vscnt null, 0x0
	global_store_dwordx2 v[2:3], v[0:1], off
	s_and_b32 m0, s6, 0x7fffff
	s_sendmsg sendmsg(MSG_INTERRUPT)
.LBB0_181:
	s_or_b32 exec_lo, exec_lo, s1
	s_branch .LBB0_185
	.p2align	6
.LBB0_182:                              ;   in Loop: Header=BB0_185 Depth=1
	s_or_b32 exec_lo, exec_lo, s1
	v_readfirstlane_b32 s1, v0
	s_cmp_eq_u32 s1, 0
	s_cbranch_scc1 .LBB0_184
; %bb.183:                              ;   in Loop: Header=BB0_185 Depth=1
	s_sleep 1
	s_cbranch_execnz .LBB0_185
	s_branch .LBB0_187
	.p2align	6
.LBB0_184:
	s_branch .LBB0_187
.LBB0_185:                              ; =>This Inner Loop Header: Depth=1
	v_mov_b32_e32 v0, 1
	s_and_saveexec_b32 s1, s0
	s_cbranch_execz .LBB0_182
; %bb.186:                              ;   in Loop: Header=BB0_185 Depth=1
	global_load_dword v0, v[12:13], off offset:20 glc dlc
	s_waitcnt vmcnt(0)
	buffer_gl1_inv
	buffer_gl0_inv
	v_and_b32_e32 v0, 1, v0
	s_branch .LBB0_182
.LBB0_187:
	global_load_dwordx2 v[0:1], v[6:7], off
	s_and_saveexec_b32 s6, s0
	s_cbranch_execz .LBB0_191
; %bb.188:
	v_mov_b32_e32 v8, 0
	s_clause 0x2
	global_load_dwordx2 v[2:3], v8, s[2:3] offset:40
	global_load_dwordx2 v[11:12], v8, s[2:3] offset:24 glc dlc
	global_load_dwordx2 v[4:5], v8, s[2:3]
	s_waitcnt vmcnt(2)
	v_readfirstlane_b32 s8, v2
	v_readfirstlane_b32 s9, v3
	s_add_u32 s7, s8, 1
	s_addc_u32 s10, s9, 0
	s_add_u32 s0, s7, s4
	s_addc_u32 s1, s10, s5
	s_cmp_eq_u64 s[0:1], 0
	s_cselect_b32 s1, s10, s1
	s_cselect_b32 s0, s7, s0
	v_mov_b32_e32 v10, s1
	s_and_b64 s[4:5], s[0:1], s[8:9]
	v_mov_b32_e32 v9, s0
	s_mul_i32 s5, s5, 24
	s_mul_hi_u32 s7, s4, 24
	s_mul_i32 s4, s4, 24
	s_add_i32 s7, s7, s5
	s_waitcnt vmcnt(0)
	v_add_co_u32 v6, vcc_lo, v4, s4
	v_add_co_ci_u32_e64 v7, null, s7, v5, vcc_lo
	global_store_dwordx2 v[6:7], v[11:12], off
	s_waitcnt_vscnt null, 0x0
	global_atomic_cmpswap_x2 v[4:5], v8, v[9:12], s[2:3] offset:24 glc
	s_waitcnt vmcnt(0)
	v_cmp_ne_u64_e32 vcc_lo, v[4:5], v[11:12]
	s_and_b32 exec_lo, exec_lo, vcc_lo
	s_cbranch_execz .LBB0_191
; %bb.189:
	s_mov_b32 s4, 0
.LBB0_190:                              ; =>This Inner Loop Header: Depth=1
	v_mov_b32_e32 v2, s0
	v_mov_b32_e32 v3, s1
	s_sleep 1
	global_store_dwordx2 v[6:7], v[4:5], off
	s_waitcnt_vscnt null, 0x0
	global_atomic_cmpswap_x2 v[2:3], v8, v[2:5], s[2:3] offset:24 glc
	s_waitcnt vmcnt(0)
	v_cmp_eq_u64_e32 vcc_lo, v[2:3], v[4:5]
	v_mov_b32_e32 v5, v3
	v_mov_b32_e32 v4, v2
	s_or_b32 s4, vcc_lo, s4
	s_andn2_b32 exec_lo, exec_lo, s4
	s_cbranch_execnz .LBB0_190
.LBB0_191:
	s_or_b32 exec_lo, exec_lo, s6
	v_readfirstlane_b32 s0, v31
	v_mov_b32_e32 v2, 0
	v_mov_b32_e32 v3, 0
	v_cmp_eq_u32_e64 s0, s0, v31
	s_and_saveexec_b32 s1, s0
	s_cbranch_execz .LBB0_197
; %bb.192:
	v_mov_b32_e32 v4, 0
	s_mov_b32 s4, exec_lo
	global_load_dwordx2 v[7:8], v4, s[2:3] offset:24 glc dlc
	s_waitcnt vmcnt(0)
	buffer_gl1_inv
	buffer_gl0_inv
	s_clause 0x1
	global_load_dwordx2 v[2:3], v4, s[2:3] offset:40
	global_load_dwordx2 v[5:6], v4, s[2:3]
	s_waitcnt vmcnt(1)
	v_and_b32_e32 v3, v3, v8
	v_and_b32_e32 v2, v2, v7
	v_mul_lo_u32 v3, v3, 24
	v_mul_hi_u32 v9, v2, 24
	v_mul_lo_u32 v2, v2, 24
	v_add_nc_u32_e32 v3, v9, v3
	s_waitcnt vmcnt(0)
	v_add_co_u32 v2, vcc_lo, v5, v2
	v_add_co_ci_u32_e64 v3, null, v6, v3, vcc_lo
	global_load_dwordx2 v[5:6], v[2:3], off glc dlc
	s_waitcnt vmcnt(0)
	global_atomic_cmpswap_x2 v[2:3], v4, v[5:8], s[2:3] offset:24 glc
	s_waitcnt vmcnt(0)
	buffer_gl1_inv
	buffer_gl0_inv
	v_cmpx_ne_u64_e64 v[2:3], v[7:8]
	s_cbranch_execz .LBB0_196
; %bb.193:
	s_mov_b32 s5, 0
	.p2align	6
.LBB0_194:                              ; =>This Inner Loop Header: Depth=1
	s_sleep 1
	s_clause 0x1
	global_load_dwordx2 v[5:6], v4, s[2:3] offset:40
	global_load_dwordx2 v[9:10], v4, s[2:3]
	v_mov_b32_e32 v8, v3
	v_mov_b32_e32 v7, v2
	s_waitcnt vmcnt(1)
	v_and_b32_e32 v2, v5, v7
	v_and_b32_e32 v5, v6, v8
	s_waitcnt vmcnt(0)
	v_mad_u64_u32 v[2:3], null, v2, 24, v[9:10]
	v_mad_u64_u32 v[5:6], null, v5, 24, v[3:4]
	v_mov_b32_e32 v3, v5
	global_load_dwordx2 v[5:6], v[2:3], off glc dlc
	s_waitcnt vmcnt(0)
	global_atomic_cmpswap_x2 v[2:3], v4, v[5:8], s[2:3] offset:24 glc
	s_waitcnt vmcnt(0)
	buffer_gl1_inv
	buffer_gl0_inv
	v_cmp_eq_u64_e32 vcc_lo, v[2:3], v[7:8]
	s_or_b32 s5, vcc_lo, s5
	s_andn2_b32 exec_lo, exec_lo, s5
	s_cbranch_execnz .LBB0_194
; %bb.195:
	s_or_b32 exec_lo, exec_lo, s5
.LBB0_196:
	s_or_b32 exec_lo, exec_lo, s4
.LBB0_197:
	s_or_b32 exec_lo, exec_lo, s1
	v_mov_b32_e32 v9, 0
	v_readfirstlane_b32 s5, v3
	v_readfirstlane_b32 s4, v2
	s_mov_b32 s1, exec_lo
	s_clause 0x1
	global_load_dwordx2 v[10:11], v9, s[2:3] offset:40
	global_load_dwordx4 v[4:7], v9, s[2:3]
	s_waitcnt vmcnt(1)
	v_readfirstlane_b32 s6, v10
	v_readfirstlane_b32 s7, v11
	s_and_b64 s[6:7], s[6:7], s[4:5]
	s_mul_i32 s8, s7, 24
	s_mul_hi_u32 s9, s6, 24
	s_mul_i32 s10, s6, 24
	s_add_i32 s9, s9, s8
	s_waitcnt vmcnt(0)
	v_add_co_u32 v12, vcc_lo, v4, s10
	v_add_co_ci_u32_e64 v13, null, s9, v5, vcc_lo
	s_and_saveexec_b32 s8, s0
	s_cbranch_execz .LBB0_199
; %bb.198:
	v_mov_b32_e32 v8, s1
	v_mov_b32_e32 v10, 2
	;; [unrolled: 1-line block ×3, first 2 shown]
	global_store_dwordx4 v[12:13], v[8:11], off offset:8
.LBB0_199:
	s_or_b32 exec_lo, exec_lo, s8
	v_cvt_f64_f32_e32 v[2:3], v32
	s_lshl_b64 s[6:7], s[6:7], 12
	s_mov_b32 s8, 0
	v_add_co_u32 v6, vcc_lo, v6, s6
	v_add_co_ci_u32_e64 v7, null, s7, v7, vcc_lo
	s_mov_b32 s9, s8
	s_mov_b32 s10, s8
	;; [unrolled: 1-line block ×3, first 2 shown]
	v_readfirstlane_b32 s6, v6
	v_add_co_u32 v6, vcc_lo, v6, v30
	v_mov_b32_e32 v8, s8
	v_mov_b32_e32 v9, s9
	;; [unrolled: 1-line block ×4, first 2 shown]
	v_readfirstlane_b32 s7, v7
	v_add_co_ci_u32_e64 v7, null, 0, v7, vcc_lo
	v_and_or_b32 v0, 0xffffff1f, v0, 32
	global_store_dwordx4 v30, v[8:11], s[6:7] offset:16
	global_store_dwordx4 v30, v[8:11], s[6:7] offset:32
	global_store_dwordx4 v30, v[0:3], s[6:7]
	global_store_dwordx4 v30, v[8:11], s[6:7] offset:48
	s_and_saveexec_b32 s1, s0
	s_cbranch_execz .LBB0_207
; %bb.200:
	v_mov_b32_e32 v8, 0
	v_mov_b32_e32 v14, s4
	;; [unrolled: 1-line block ×3, first 2 shown]
	s_clause 0x1
	global_load_dwordx2 v[16:17], v8, s[2:3] offset:32 glc dlc
	global_load_dwordx2 v[0:1], v8, s[2:3] offset:40
	s_waitcnt vmcnt(0)
	v_readfirstlane_b32 s6, v0
	v_readfirstlane_b32 s7, v1
	s_and_b64 s[6:7], s[6:7], s[4:5]
	s_mul_i32 s7, s7, 24
	s_mul_hi_u32 s8, s6, 24
	s_mul_i32 s6, s6, 24
	s_add_i32 s8, s8, s7
	v_add_co_u32 v4, vcc_lo, v4, s6
	v_add_co_ci_u32_e64 v5, null, s8, v5, vcc_lo
	s_mov_b32 s6, exec_lo
	global_store_dwordx2 v[4:5], v[16:17], off
	s_waitcnt_vscnt null, 0x0
	global_atomic_cmpswap_x2 v[2:3], v8, v[14:17], s[2:3] offset:32 glc
	s_waitcnt vmcnt(0)
	v_cmpx_ne_u64_e64 v[2:3], v[16:17]
	s_cbranch_execz .LBB0_203
; %bb.201:
	s_mov_b32 s7, 0
.LBB0_202:                              ; =>This Inner Loop Header: Depth=1
	v_mov_b32_e32 v0, s4
	v_mov_b32_e32 v1, s5
	s_sleep 1
	global_store_dwordx2 v[4:5], v[2:3], off
	s_waitcnt_vscnt null, 0x0
	global_atomic_cmpswap_x2 v[0:1], v8, v[0:3], s[2:3] offset:32 glc
	s_waitcnt vmcnt(0)
	v_cmp_eq_u64_e32 vcc_lo, v[0:1], v[2:3]
	v_mov_b32_e32 v3, v1
	v_mov_b32_e32 v2, v0
	s_or_b32 s7, vcc_lo, s7
	s_andn2_b32 exec_lo, exec_lo, s7
	s_cbranch_execnz .LBB0_202
.LBB0_203:
	s_or_b32 exec_lo, exec_lo, s6
	v_mov_b32_e32 v3, 0
	s_mov_b32 s7, exec_lo
	s_mov_b32 s6, exec_lo
	v_mbcnt_lo_u32_b32 v2, s7, 0
	global_load_dwordx2 v[0:1], v3, s[2:3] offset:16
	v_cmpx_eq_u32_e32 0, v2
	s_cbranch_execz .LBB0_205
; %bb.204:
	s_bcnt1_i32_b32 s7, s7
	v_mov_b32_e32 v2, s7
	s_waitcnt vmcnt(0)
	global_atomic_add_x2 v[0:1], v[2:3], off offset:8
.LBB0_205:
	s_or_b32 exec_lo, exec_lo, s6
	s_waitcnt vmcnt(0)
	global_load_dwordx2 v[2:3], v[0:1], off offset:16
	s_waitcnt vmcnt(0)
	v_cmp_eq_u64_e32 vcc_lo, 0, v[2:3]
	s_cbranch_vccnz .LBB0_207
; %bb.206:
	global_load_dword v0, v[0:1], off offset:24
	v_mov_b32_e32 v1, 0
	s_waitcnt vmcnt(0)
	v_readfirstlane_b32 s6, v0
	s_waitcnt_vscnt null, 0x0
	global_store_dwordx2 v[2:3], v[0:1], off
	s_and_b32 m0, s6, 0x7fffff
	s_sendmsg sendmsg(MSG_INTERRUPT)
.LBB0_207:
	s_or_b32 exec_lo, exec_lo, s1
	s_branch .LBB0_211
	.p2align	6
.LBB0_208:                              ;   in Loop: Header=BB0_211 Depth=1
	s_or_b32 exec_lo, exec_lo, s1
	v_readfirstlane_b32 s1, v0
	s_cmp_eq_u32 s1, 0
	s_cbranch_scc1 .LBB0_210
; %bb.209:                              ;   in Loop: Header=BB0_211 Depth=1
	s_sleep 1
	s_cbranch_execnz .LBB0_211
	s_branch .LBB0_213
	.p2align	6
.LBB0_210:
	s_branch .LBB0_213
.LBB0_211:                              ; =>This Inner Loop Header: Depth=1
	v_mov_b32_e32 v0, 1
	s_and_saveexec_b32 s1, s0
	s_cbranch_execz .LBB0_208
; %bb.212:                              ;   in Loop: Header=BB0_211 Depth=1
	global_load_dword v0, v[12:13], off offset:20 glc dlc
	s_waitcnt vmcnt(0)
	buffer_gl1_inv
	buffer_gl0_inv
	v_and_b32_e32 v0, 1, v0
	s_branch .LBB0_208
.LBB0_213:
	global_load_dwordx2 v[0:1], v[6:7], off
	s_and_saveexec_b32 s6, s0
	s_cbranch_execz .LBB0_217
; %bb.214:
	v_mov_b32_e32 v8, 0
	s_clause 0x2
	global_load_dwordx2 v[2:3], v8, s[2:3] offset:40
	global_load_dwordx2 v[11:12], v8, s[2:3] offset:24 glc dlc
	global_load_dwordx2 v[4:5], v8, s[2:3]
	s_waitcnt vmcnt(2)
	v_readfirstlane_b32 s8, v2
	v_readfirstlane_b32 s9, v3
	s_add_u32 s7, s8, 1
	s_addc_u32 s10, s9, 0
	s_add_u32 s0, s7, s4
	s_addc_u32 s1, s10, s5
	s_cmp_eq_u64 s[0:1], 0
	s_cselect_b32 s1, s10, s1
	s_cselect_b32 s0, s7, s0
	v_mov_b32_e32 v10, s1
	s_and_b64 s[4:5], s[0:1], s[8:9]
	v_mov_b32_e32 v9, s0
	s_mul_i32 s5, s5, 24
	s_mul_hi_u32 s7, s4, 24
	s_mul_i32 s4, s4, 24
	s_add_i32 s7, s7, s5
	s_waitcnt vmcnt(0)
	v_add_co_u32 v6, vcc_lo, v4, s4
	v_add_co_ci_u32_e64 v7, null, s7, v5, vcc_lo
	global_store_dwordx2 v[6:7], v[11:12], off
	s_waitcnt_vscnt null, 0x0
	global_atomic_cmpswap_x2 v[4:5], v8, v[9:12], s[2:3] offset:24 glc
	s_waitcnt vmcnt(0)
	v_cmp_ne_u64_e32 vcc_lo, v[4:5], v[11:12]
	s_and_b32 exec_lo, exec_lo, vcc_lo
	s_cbranch_execz .LBB0_217
; %bb.215:
	s_mov_b32 s4, 0
.LBB0_216:                              ; =>This Inner Loop Header: Depth=1
	v_mov_b32_e32 v2, s0
	v_mov_b32_e32 v3, s1
	s_sleep 1
	global_store_dwordx2 v[6:7], v[4:5], off
	s_waitcnt_vscnt null, 0x0
	global_atomic_cmpswap_x2 v[2:3], v8, v[2:5], s[2:3] offset:24 glc
	s_waitcnt vmcnt(0)
	v_cmp_eq_u64_e32 vcc_lo, v[2:3], v[4:5]
	v_mov_b32_e32 v5, v3
	v_mov_b32_e32 v4, v2
	s_or_b32 s4, vcc_lo, s4
	s_andn2_b32 exec_lo, exec_lo, s4
	s_cbranch_execnz .LBB0_216
.LBB0_217:
	s_or_b32 exec_lo, exec_lo, s6
	v_readfirstlane_b32 s0, v31
	v_mov_b32_e32 v2, 0
	v_mov_b32_e32 v3, 0
	v_cmp_eq_u32_e64 s0, s0, v31
	s_and_saveexec_b32 s1, s0
	s_cbranch_execz .LBB0_223
; %bb.218:
	v_mov_b32_e32 v4, 0
	s_mov_b32 s4, exec_lo
	global_load_dwordx2 v[7:8], v4, s[2:3] offset:24 glc dlc
	s_waitcnt vmcnt(0)
	buffer_gl1_inv
	buffer_gl0_inv
	s_clause 0x1
	global_load_dwordx2 v[2:3], v4, s[2:3] offset:40
	global_load_dwordx2 v[5:6], v4, s[2:3]
	s_waitcnt vmcnt(1)
	v_and_b32_e32 v3, v3, v8
	v_and_b32_e32 v2, v2, v7
	v_mul_lo_u32 v3, v3, 24
	v_mul_hi_u32 v9, v2, 24
	v_mul_lo_u32 v2, v2, 24
	v_add_nc_u32_e32 v3, v9, v3
	s_waitcnt vmcnt(0)
	v_add_co_u32 v2, vcc_lo, v5, v2
	v_add_co_ci_u32_e64 v3, null, v6, v3, vcc_lo
	global_load_dwordx2 v[5:6], v[2:3], off glc dlc
	s_waitcnt vmcnt(0)
	global_atomic_cmpswap_x2 v[2:3], v4, v[5:8], s[2:3] offset:24 glc
	s_waitcnt vmcnt(0)
	buffer_gl1_inv
	buffer_gl0_inv
	v_cmpx_ne_u64_e64 v[2:3], v[7:8]
	s_cbranch_execz .LBB0_222
; %bb.219:
	s_mov_b32 s5, 0
	.p2align	6
.LBB0_220:                              ; =>This Inner Loop Header: Depth=1
	s_sleep 1
	s_clause 0x1
	global_load_dwordx2 v[5:6], v4, s[2:3] offset:40
	global_load_dwordx2 v[9:10], v4, s[2:3]
	v_mov_b32_e32 v8, v3
	v_mov_b32_e32 v7, v2
	s_waitcnt vmcnt(1)
	v_and_b32_e32 v2, v5, v7
	v_and_b32_e32 v5, v6, v8
	s_waitcnt vmcnt(0)
	v_mad_u64_u32 v[2:3], null, v2, 24, v[9:10]
	v_mad_u64_u32 v[5:6], null, v5, 24, v[3:4]
	v_mov_b32_e32 v3, v5
	global_load_dwordx2 v[5:6], v[2:3], off glc dlc
	s_waitcnt vmcnt(0)
	global_atomic_cmpswap_x2 v[2:3], v4, v[5:8], s[2:3] offset:24 glc
	s_waitcnt vmcnt(0)
	buffer_gl1_inv
	buffer_gl0_inv
	v_cmp_eq_u64_e32 vcc_lo, v[2:3], v[7:8]
	s_or_b32 s5, vcc_lo, s5
	s_andn2_b32 exec_lo, exec_lo, s5
	s_cbranch_execnz .LBB0_220
; %bb.221:
	s_or_b32 exec_lo, exec_lo, s5
.LBB0_222:
	s_or_b32 exec_lo, exec_lo, s4
.LBB0_223:
	s_or_b32 exec_lo, exec_lo, s1
	v_mov_b32_e32 v9, 0
	v_readfirstlane_b32 s5, v3
	v_readfirstlane_b32 s4, v2
	s_mov_b32 s1, exec_lo
	s_clause 0x1
	global_load_dwordx2 v[10:11], v9, s[2:3] offset:40
	global_load_dwordx4 v[4:7], v9, s[2:3]
	s_waitcnt vmcnt(1)
	v_readfirstlane_b32 s6, v10
	v_readfirstlane_b32 s7, v11
	s_and_b64 s[6:7], s[6:7], s[4:5]
	s_mul_i32 s8, s7, 24
	s_mul_hi_u32 s9, s6, 24
	s_mul_i32 s10, s6, 24
	s_add_i32 s9, s9, s8
	s_waitcnt vmcnt(0)
	v_add_co_u32 v12, vcc_lo, v4, s10
	v_add_co_ci_u32_e64 v13, null, s9, v5, vcc_lo
	s_and_saveexec_b32 s8, s0
	s_cbranch_execz .LBB0_225
; %bb.224:
	v_mov_b32_e32 v8, s1
	v_mov_b32_e32 v10, 2
	;; [unrolled: 1-line block ×3, first 2 shown]
	global_store_dwordx4 v[12:13], v[8:11], off offset:8
.LBB0_225:
	s_or_b32 exec_lo, exec_lo, s8
	v_cvt_f64_f32_e32 v[2:3], v29
	s_lshl_b64 s[6:7], s[6:7], 12
	s_mov_b32 s8, 0
	v_add_co_u32 v10, vcc_lo, v6, s6
	v_add_co_ci_u32_e64 v11, null, s7, v7, vcc_lo
	s_mov_b32 s9, s8
	s_mov_b32 s10, s8
	;; [unrolled: 1-line block ×3, first 2 shown]
	v_mov_b32_e32 v6, s8
	v_mov_b32_e32 v7, s9
	;; [unrolled: 1-line block ×4, first 2 shown]
	v_readfirstlane_b32 s6, v10
	v_readfirstlane_b32 s7, v11
	v_and_or_b32 v0, 0xffffff1d, v0, 34
	global_store_dwordx4 v30, v[6:9], s[6:7] offset:16
	global_store_dwordx4 v30, v[6:9], s[6:7] offset:32
	global_store_dwordx4 v30, v[0:3], s[6:7]
	global_store_dwordx4 v30, v[6:9], s[6:7] offset:48
	s_and_saveexec_b32 s1, s0
	s_cbranch_execz .LBB0_233
; %bb.226:
	v_mov_b32_e32 v6, 0
	v_mov_b32_e32 v7, s4
	v_mov_b32_e32 v8, s5
	s_clause 0x1
	global_load_dwordx2 v[9:10], v6, s[2:3] offset:32 glc dlc
	global_load_dwordx2 v[0:1], v6, s[2:3] offset:40
	s_waitcnt vmcnt(0)
	v_readfirstlane_b32 s6, v0
	v_readfirstlane_b32 s7, v1
	s_and_b64 s[6:7], s[6:7], s[4:5]
	s_mul_i32 s7, s7, 24
	s_mul_hi_u32 s8, s6, 24
	s_mul_i32 s6, s6, 24
	s_add_i32 s8, s8, s7
	v_add_co_u32 v4, vcc_lo, v4, s6
	v_add_co_ci_u32_e64 v5, null, s8, v5, vcc_lo
	s_mov_b32 s6, exec_lo
	global_store_dwordx2 v[4:5], v[9:10], off
	s_waitcnt_vscnt null, 0x0
	global_atomic_cmpswap_x2 v[2:3], v6, v[7:10], s[2:3] offset:32 glc
	s_waitcnt vmcnt(0)
	v_cmpx_ne_u64_e64 v[2:3], v[9:10]
	s_cbranch_execz .LBB0_229
; %bb.227:
	s_mov_b32 s7, 0
.LBB0_228:                              ; =>This Inner Loop Header: Depth=1
	v_mov_b32_e32 v0, s4
	v_mov_b32_e32 v1, s5
	s_sleep 1
	global_store_dwordx2 v[4:5], v[2:3], off
	s_waitcnt_vscnt null, 0x0
	global_atomic_cmpswap_x2 v[0:1], v6, v[0:3], s[2:3] offset:32 glc
	s_waitcnt vmcnt(0)
	v_cmp_eq_u64_e32 vcc_lo, v[0:1], v[2:3]
	v_mov_b32_e32 v3, v1
	v_mov_b32_e32 v2, v0
	s_or_b32 s7, vcc_lo, s7
	s_andn2_b32 exec_lo, exec_lo, s7
	s_cbranch_execnz .LBB0_228
.LBB0_229:
	s_or_b32 exec_lo, exec_lo, s6
	v_mov_b32_e32 v3, 0
	s_mov_b32 s7, exec_lo
	s_mov_b32 s6, exec_lo
	v_mbcnt_lo_u32_b32 v2, s7, 0
	global_load_dwordx2 v[0:1], v3, s[2:3] offset:16
	v_cmpx_eq_u32_e32 0, v2
	s_cbranch_execz .LBB0_231
; %bb.230:
	s_bcnt1_i32_b32 s7, s7
	v_mov_b32_e32 v2, s7
	s_waitcnt vmcnt(0)
	global_atomic_add_x2 v[0:1], v[2:3], off offset:8
.LBB0_231:
	s_or_b32 exec_lo, exec_lo, s6
	s_waitcnt vmcnt(0)
	global_load_dwordx2 v[2:3], v[0:1], off offset:16
	s_waitcnt vmcnt(0)
	v_cmp_eq_u64_e32 vcc_lo, 0, v[2:3]
	s_cbranch_vccnz .LBB0_233
; %bb.232:
	global_load_dword v0, v[0:1], off offset:24
	v_mov_b32_e32 v1, 0
	s_waitcnt vmcnt(0)
	v_readfirstlane_b32 s6, v0
	s_waitcnt_vscnt null, 0x0
	global_store_dwordx2 v[2:3], v[0:1], off
	s_and_b32 m0, s6, 0x7fffff
	s_sendmsg sendmsg(MSG_INTERRUPT)
.LBB0_233:
	s_or_b32 exec_lo, exec_lo, s1
	s_branch .LBB0_237
	.p2align	6
.LBB0_234:                              ;   in Loop: Header=BB0_237 Depth=1
	s_or_b32 exec_lo, exec_lo, s1
	v_readfirstlane_b32 s1, v0
	s_cmp_eq_u32 s1, 0
	s_cbranch_scc1 .LBB0_236
; %bb.235:                              ;   in Loop: Header=BB0_237 Depth=1
	s_sleep 1
	s_cbranch_execnz .LBB0_237
	s_branch .LBB0_239
	.p2align	6
.LBB0_236:
	s_branch .LBB0_239
.LBB0_237:                              ; =>This Inner Loop Header: Depth=1
	v_mov_b32_e32 v0, 1
	s_and_saveexec_b32 s1, s0
	s_cbranch_execz .LBB0_234
; %bb.238:                              ;   in Loop: Header=BB0_237 Depth=1
	global_load_dword v0, v[12:13], off offset:20 glc dlc
	s_waitcnt vmcnt(0)
	buffer_gl1_inv
	buffer_gl0_inv
	v_and_b32_e32 v0, 1, v0
	s_branch .LBB0_234
.LBB0_239:
	s_and_b32 exec_lo, exec_lo, s0
	s_cbranch_execz .LBB0_243
; %bb.240:
	v_mov_b32_e32 v6, 0
	s_clause 0x2
	global_load_dwordx2 v[0:1], v6, s[2:3] offset:40
	global_load_dwordx2 v[9:10], v6, s[2:3] offset:24 glc dlc
	global_load_dwordx2 v[2:3], v6, s[2:3]
	s_waitcnt vmcnt(2)
	v_readfirstlane_b32 s6, v0
	v_readfirstlane_b32 s7, v1
	s_add_u32 s8, s6, 1
	s_addc_u32 s9, s7, 0
	s_add_u32 s0, s8, s4
	s_addc_u32 s1, s9, s5
	s_cmp_eq_u64 s[0:1], 0
	s_cselect_b32 s1, s9, s1
	s_cselect_b32 s0, s8, s0
	v_mov_b32_e32 v8, s1
	s_and_b64 s[4:5], s[0:1], s[6:7]
	v_mov_b32_e32 v7, s0
	s_mul_i32 s5, s5, 24
	s_mul_hi_u32 s6, s4, 24
	s_mul_i32 s4, s4, 24
	s_add_i32 s6, s6, s5
	s_waitcnt vmcnt(0)
	v_add_co_u32 v4, vcc_lo, v2, s4
	v_add_co_ci_u32_e64 v5, null, s6, v3, vcc_lo
	global_store_dwordx2 v[4:5], v[9:10], off
	s_waitcnt_vscnt null, 0x0
	global_atomic_cmpswap_x2 v[2:3], v6, v[7:10], s[2:3] offset:24 glc
	s_waitcnt vmcnt(0)
	v_cmp_ne_u64_e32 vcc_lo, v[2:3], v[9:10]
	s_and_b32 exec_lo, exec_lo, vcc_lo
	s_cbranch_execz .LBB0_243
; %bb.241:
	s_mov_b32 s4, 0
.LBB0_242:                              ; =>This Inner Loop Header: Depth=1
	v_mov_b32_e32 v0, s0
	v_mov_b32_e32 v1, s1
	s_sleep 1
	global_store_dwordx2 v[4:5], v[2:3], off
	s_waitcnt_vscnt null, 0x0
	global_atomic_cmpswap_x2 v[0:1], v6, v[0:3], s[2:3] offset:24 glc
	s_waitcnt vmcnt(0)
	v_cmp_eq_u64_e32 vcc_lo, v[0:1], v[2:3]
	v_mov_b32_e32 v3, v1
	v_mov_b32_e32 v2, v0
	s_or_b32 s4, vcc_lo, s4
	s_andn2_b32 exec_lo, exec_lo, s4
	s_cbranch_execnz .LBB0_242
.LBB0_243:
	s_endpgm
	.section	.rodata,"a",@progbits
	.p2align	6, 0x0
	.amdhsa_kernel _Z17check_correctnessP6__halfS0_S0_i
		.amdhsa_group_segment_fixed_size 0
		.amdhsa_private_segment_fixed_size 0
		.amdhsa_kernarg_size 288
		.amdhsa_user_sgpr_count 6
		.amdhsa_user_sgpr_private_segment_buffer 1
		.amdhsa_user_sgpr_dispatch_ptr 0
		.amdhsa_user_sgpr_queue_ptr 0
		.amdhsa_user_sgpr_kernarg_segment_ptr 1
		.amdhsa_user_sgpr_dispatch_id 0
		.amdhsa_user_sgpr_flat_scratch_init 0
		.amdhsa_user_sgpr_private_segment_size 0
		.amdhsa_wavefront_size32 1
		.amdhsa_uses_dynamic_stack 0
		.amdhsa_system_sgpr_private_segment_wavefront_offset 0
		.amdhsa_system_sgpr_workgroup_id_x 1
		.amdhsa_system_sgpr_workgroup_id_y 0
		.amdhsa_system_sgpr_workgroup_id_z 0
		.amdhsa_system_sgpr_workgroup_info 0
		.amdhsa_system_vgpr_workitem_id 0
		.amdhsa_next_free_vgpr 37
		.amdhsa_next_free_sgpr 18
		.amdhsa_reserve_vcc 1
		.amdhsa_reserve_flat_scratch 0
		.amdhsa_float_round_mode_32 0
		.amdhsa_float_round_mode_16_64 0
		.amdhsa_float_denorm_mode_32 3
		.amdhsa_float_denorm_mode_16_64 3
		.amdhsa_dx10_clamp 1
		.amdhsa_ieee_mode 1
		.amdhsa_fp16_overflow 0
		.amdhsa_workgroup_processor_mode 1
		.amdhsa_memory_ordered 1
		.amdhsa_forward_progress 1
		.amdhsa_shared_vgpr_count 0
		.amdhsa_exception_fp_ieee_invalid_op 0
		.amdhsa_exception_fp_denorm_src 0
		.amdhsa_exception_fp_ieee_div_zero 0
		.amdhsa_exception_fp_ieee_overflow 0
		.amdhsa_exception_fp_ieee_underflow 0
		.amdhsa_exception_fp_ieee_inexact 0
		.amdhsa_exception_int_div_zero 0
	.end_amdhsa_kernel
	.text
.Lfunc_end0:
	.size	_Z17check_correctnessP6__halfS0_S0_i, .Lfunc_end0-_Z17check_correctnessP6__halfS0_S0_i
                                        ; -- End function
	.set _Z17check_correctnessP6__halfS0_S0_i.num_vgpr, 37
	.set _Z17check_correctnessP6__halfS0_S0_i.num_agpr, 0
	.set _Z17check_correctnessP6__halfS0_S0_i.numbered_sgpr, 18
	.set _Z17check_correctnessP6__halfS0_S0_i.num_named_barrier, 0
	.set _Z17check_correctnessP6__halfS0_S0_i.private_seg_size, 0
	.set _Z17check_correctnessP6__halfS0_S0_i.uses_vcc, 1
	.set _Z17check_correctnessP6__halfS0_S0_i.uses_flat_scratch, 0
	.set _Z17check_correctnessP6__halfS0_S0_i.has_dyn_sized_stack, 0
	.set _Z17check_correctnessP6__halfS0_S0_i.has_recursion, 0
	.set _Z17check_correctnessP6__halfS0_S0_i.has_indirect_call, 0
	.section	.AMDGPU.csdata,"",@progbits
; Kernel info:
; codeLenInByte = 10716
; TotalNumSgprs: 20
; NumVgprs: 37
; ScratchSize: 0
; MemoryBound: 0
; FloatMode: 240
; IeeeMode: 1
; LDSByteSize: 0 bytes/workgroup (compile time only)
; SGPRBlocks: 0
; VGPRBlocks: 4
; NumSGPRsForWavesPerEU: 20
; NumVGPRsForWavesPerEU: 37
; Occupancy: 16
; WaveLimiterHint : 1
; COMPUTE_PGM_RSRC2:SCRATCH_EN: 0
; COMPUTE_PGM_RSRC2:USER_SGPR: 6
; COMPUTE_PGM_RSRC2:TRAP_HANDLER: 0
; COMPUTE_PGM_RSRC2:TGID_X_EN: 1
; COMPUTE_PGM_RSRC2:TGID_Y_EN: 0
; COMPUTE_PGM_RSRC2:TGID_Z_EN: 0
; COMPUTE_PGM_RSRC2:TIDIG_COMP_CNT: 0
	.text
	.protected	_Z32check_int8_quantized_correctnessPaP6__halfS1_S0_S0_i ; -- Begin function _Z32check_int8_quantized_correctnessPaP6__halfS1_S0_S0_i
	.globl	_Z32check_int8_quantized_correctnessPaP6__halfS1_S0_S0_i
	.p2align	8
	.type	_Z32check_int8_quantized_correctnessPaP6__halfS1_S0_S0_i,@function
_Z32check_int8_quantized_correctnessPaP6__halfS1_S0_S0_i: ; @_Z32check_int8_quantized_correctnessPaP6__halfS1_S0_S0_i
; %bb.0:
	s_clause 0x1
	s_load_dword s0, s[4:5], 0x2c
	s_load_dword s10, s[4:5], 0x1c
	s_add_u32 s8, s4, 32
	s_addc_u32 s9, s5, 0
	s_waitcnt lgkmcnt(0)
	s_and_b32 s0, s0, 0xffff
	v_mad_u64_u32 v[26:27], null, s6, s0, v[0:1]
	s_mov_b32 s0, exec_lo
	v_cmpx_gt_i32_e64 s10, v26
	s_cbranch_execz .LBB1_243
; %bb.1:
	s_clause 0x1
	s_load_dwordx4 s[0:3], s[4:5], 0x0
	s_load_dwordx2 s[6:7], s[4:5], 0x10
	s_cmp_lt_i32 s10, 1
	s_cbranch_scc1 .LBB1_4
; %bb.2:
	v_mov_b32_e32 v2, 0
	v_mul_lo_u32 v0, v26, s10
	v_mov_b32_e32 v32, 0
	global_load_dword v4, v2, s[4:5] offset:24
	v_ashrrev_i32_e32 v1, 31, v0
	s_waitcnt lgkmcnt(0)
	v_add_co_u32 v0, vcc_lo, s0, v0
	s_mov_b32 s0, s10
	v_add_co_ci_u32_e64 v1, null, s1, v1, vcc_lo
	s_waitcnt vmcnt(0)
	v_cvt_f32_f16_sdwa v3, v4 dst_sel:DWORD dst_unused:UNUSED_PAD src0_sel:WORD_1
	v_cvt_f32_f16_e32 v4, v4
	.p2align	6
.LBB1_3:                                ; =>This Inner Loop Header: Depth=1
	global_load_sbyte v5, v[0:1], off
	global_load_ushort v6, v2, s[2:3]
	v_add_co_u32 v0, vcc_lo, v0, 1
	s_add_i32 s0, s0, -1
	v_add_co_ci_u32_e64 v1, null, 0, v1, vcc_lo
	s_add_u32 s2, s2, 2
	s_addc_u32 s3, s3, 0
	s_cmp_eq_u32 s0, 0
	s_waitcnt vmcnt(1)
	v_cvt_f32_i32_e32 v5, v5
	v_sub_f32_e32 v5, v5, v3
	v_mul_f32_e32 v5, v5, v4
	s_waitcnt vmcnt(0)
	v_fma_mix_f32 v32, v5, v6, v32 op_sel_hi:[0,1,0]
	s_cbranch_scc0 .LBB1_3
	s_branch .LBB1_5
.LBB1_4:
	v_mov_b32_e32 v32, 0
.LBB1_5:
	v_ashrrev_i32_e32 v27, 31, v26
	v_lshlrev_b64 v[0:1], 1, v[26:27]
	s_waitcnt lgkmcnt(0)
	v_add_co_u32 v0, vcc_lo, s6, v0
	v_add_co_ci_u32_e64 v1, null, s7, v1, vcc_lo
	global_load_ushort v2, v[0:1], off
	v_cvt_f64_i32_e32 v[0:1], s10
	v_ldexp_f64 v[0:1], v[0:1], -3
	v_ldexp_f64 v[0:1], v[0:1], -9
	v_cvt_f32_f64_e32 v0, v[0:1]
	s_waitcnt vmcnt(0)
	v_cvt_f32_f16_e32 v33, v2
	v_sub_f32_e32 v29, v32, v33
	v_cmp_gt_f32_e32 vcc_lo, v29, v0
	v_cmp_lt_f32_e64 s0, v29, -v0
	s_or_b32 s0, vcc_lo, s0
	s_and_b32 exec_lo, exec_lo, s0
	s_cbranch_execz .LBB1_243
; %bb.6:
	s_load_dwordx2 s[2:3], s[8:9], 0x50
	v_mbcnt_lo_u32_b32 v31, -1, 0
	v_mov_b32_e32 v6, 0
	v_mov_b32_e32 v7, 0
	v_readfirstlane_b32 s0, v31
	v_cmp_eq_u32_e64 s0, s0, v31
	s_and_saveexec_b32 s1, s0
	s_cbranch_execz .LBB1_12
; %bb.7:
	v_mov_b32_e32 v0, 0
	s_mov_b32 s4, exec_lo
	s_waitcnt lgkmcnt(0)
	global_load_dwordx2 v[3:4], v0, s[2:3] offset:24 glc dlc
	s_waitcnt vmcnt(0)
	buffer_gl1_inv
	buffer_gl0_inv
	s_clause 0x1
	global_load_dwordx2 v[1:2], v0, s[2:3] offset:40
	global_load_dwordx2 v[5:6], v0, s[2:3]
	s_waitcnt vmcnt(1)
	v_and_b32_e32 v2, v2, v4
	v_and_b32_e32 v1, v1, v3
	v_mul_lo_u32 v2, v2, 24
	v_mul_hi_u32 v7, v1, 24
	v_mul_lo_u32 v1, v1, 24
	v_add_nc_u32_e32 v2, v7, v2
	s_waitcnt vmcnt(0)
	v_add_co_u32 v1, vcc_lo, v5, v1
	v_add_co_ci_u32_e64 v2, null, v6, v2, vcc_lo
	global_load_dwordx2 v[1:2], v[1:2], off glc dlc
	s_waitcnt vmcnt(0)
	global_atomic_cmpswap_x2 v[6:7], v0, v[1:4], s[2:3] offset:24 glc
	s_waitcnt vmcnt(0)
	buffer_gl1_inv
	buffer_gl0_inv
	v_cmpx_ne_u64_e64 v[6:7], v[3:4]
	s_cbranch_execz .LBB1_11
; %bb.8:
	s_mov_b32 s5, 0
	.p2align	6
.LBB1_9:                                ; =>This Inner Loop Header: Depth=1
	s_sleep 1
	s_clause 0x1
	global_load_dwordx2 v[1:2], v0, s[2:3] offset:40
	global_load_dwordx2 v[8:9], v0, s[2:3]
	v_mov_b32_e32 v3, v6
	v_mov_b32_e32 v4, v7
	s_waitcnt vmcnt(1)
	v_and_b32_e32 v1, v1, v3
	v_and_b32_e32 v2, v2, v4
	s_waitcnt vmcnt(0)
	v_mad_u64_u32 v[5:6], null, v1, 24, v[8:9]
	v_mov_b32_e32 v1, v6
	v_mad_u64_u32 v[1:2], null, v2, 24, v[1:2]
	v_mov_b32_e32 v6, v1
	global_load_dwordx2 v[1:2], v[5:6], off glc dlc
	s_waitcnt vmcnt(0)
	global_atomic_cmpswap_x2 v[6:7], v0, v[1:4], s[2:3] offset:24 glc
	s_waitcnt vmcnt(0)
	buffer_gl1_inv
	buffer_gl0_inv
	v_cmp_eq_u64_e32 vcc_lo, v[6:7], v[3:4]
	s_or_b32 s5, vcc_lo, s5
	s_andn2_b32 exec_lo, exec_lo, s5
	s_cbranch_execnz .LBB1_9
; %bb.10:
	s_or_b32 exec_lo, exec_lo, s5
.LBB1_11:
	s_or_b32 exec_lo, exec_lo, s4
.LBB1_12:
	s_or_b32 exec_lo, exec_lo, s1
	v_mov_b32_e32 v5, 0
	v_readfirstlane_b32 s5, v7
	v_readfirstlane_b32 s4, v6
	s_mov_b32 s1, exec_lo
	s_waitcnt lgkmcnt(0)
	s_clause 0x1
	global_load_dwordx2 v[8:9], v5, s[2:3] offset:40
	global_load_dwordx4 v[0:3], v5, s[2:3]
	s_waitcnt vmcnt(1)
	v_readfirstlane_b32 s6, v8
	v_readfirstlane_b32 s7, v9
	s_and_b64 s[6:7], s[6:7], s[4:5]
	s_mul_i32 s8, s7, 24
	s_mul_hi_u32 s9, s6, 24
	s_mul_i32 s10, s6, 24
	s_add_i32 s9, s9, s8
	s_waitcnt vmcnt(0)
	v_add_co_u32 v8, vcc_lo, v0, s10
	v_add_co_ci_u32_e64 v9, null, s9, v1, vcc_lo
	s_and_saveexec_b32 s8, s0
	s_cbranch_execz .LBB1_14
; %bb.13:
	v_mov_b32_e32 v4, s1
	v_mov_b32_e32 v6, 2
	;; [unrolled: 1-line block ×3, first 2 shown]
	global_store_dwordx4 v[8:9], v[4:7], off offset:8
.LBB1_14:
	s_or_b32 exec_lo, exec_lo, s8
	s_lshl_b64 s[6:7], s[6:7], 12
	v_lshlrev_b32_e32 v30, 6, v31
	v_add_co_u32 v2, vcc_lo, v2, s6
	v_add_co_ci_u32_e64 v3, null, s7, v3, vcc_lo
	s_mov_b32 s8, 0
	v_add_co_u32 v10, vcc_lo, v2, v30
	s_mov_b32 s11, s8
	s_mov_b32 s9, s8
	;; [unrolled: 1-line block ×3, first 2 shown]
	v_mov_b32_e32 v4, 33
	v_mov_b32_e32 v6, v5
	;; [unrolled: 1-line block ×3, first 2 shown]
	v_readfirstlane_b32 s6, v2
	v_readfirstlane_b32 s7, v3
	v_mov_b32_e32 v15, s11
	v_add_co_ci_u32_e64 v11, null, 0, v3, vcc_lo
	v_mov_b32_e32 v14, s10
	v_mov_b32_e32 v13, s9
	;; [unrolled: 1-line block ×3, first 2 shown]
	global_store_dwordx4 v30, v[4:7], s[6:7]
	global_store_dwordx4 v30, v[12:15], s[6:7] offset:16
	global_store_dwordx4 v30, v[12:15], s[6:7] offset:32
	;; [unrolled: 1-line block ×3, first 2 shown]
	s_and_saveexec_b32 s1, s0
	s_cbranch_execz .LBB1_22
; %bb.15:
	v_mov_b32_e32 v6, 0
	v_mov_b32_e32 v12, s4
	v_mov_b32_e32 v13, s5
	s_mov_b32 s6, exec_lo
	s_clause 0x1
	global_load_dwordx2 v[14:15], v6, s[2:3] offset:32 glc dlc
	global_load_dwordx2 v[2:3], v6, s[2:3] offset:40
	s_waitcnt vmcnt(0)
	v_and_b32_e32 v3, s5, v3
	v_and_b32_e32 v2, s4, v2
	v_mul_lo_u32 v3, v3, 24
	v_mul_hi_u32 v4, v2, 24
	v_mul_lo_u32 v2, v2, 24
	v_add_nc_u32_e32 v3, v4, v3
	v_add_co_u32 v4, vcc_lo, v0, v2
	v_add_co_ci_u32_e64 v5, null, v1, v3, vcc_lo
	global_store_dwordx2 v[4:5], v[14:15], off
	s_waitcnt_vscnt null, 0x0
	global_atomic_cmpswap_x2 v[2:3], v6, v[12:15], s[2:3] offset:32 glc
	s_waitcnt vmcnt(0)
	v_cmpx_ne_u64_e64 v[2:3], v[14:15]
	s_cbranch_execz .LBB1_18
; %bb.16:
	s_mov_b32 s7, 0
.LBB1_17:                               ; =>This Inner Loop Header: Depth=1
	v_mov_b32_e32 v0, s4
	v_mov_b32_e32 v1, s5
	s_sleep 1
	global_store_dwordx2 v[4:5], v[2:3], off
	s_waitcnt_vscnt null, 0x0
	global_atomic_cmpswap_x2 v[0:1], v6, v[0:3], s[2:3] offset:32 glc
	s_waitcnt vmcnt(0)
	v_cmp_eq_u64_e32 vcc_lo, v[0:1], v[2:3]
	v_mov_b32_e32 v3, v1
	v_mov_b32_e32 v2, v0
	s_or_b32 s7, vcc_lo, s7
	s_andn2_b32 exec_lo, exec_lo, s7
	s_cbranch_execnz .LBB1_17
.LBB1_18:
	s_or_b32 exec_lo, exec_lo, s6
	v_mov_b32_e32 v3, 0
	s_mov_b32 s7, exec_lo
	s_mov_b32 s6, exec_lo
	v_mbcnt_lo_u32_b32 v2, s7, 0
	global_load_dwordx2 v[0:1], v3, s[2:3] offset:16
	v_cmpx_eq_u32_e32 0, v2
	s_cbranch_execz .LBB1_20
; %bb.19:
	s_bcnt1_i32_b32 s7, s7
	v_mov_b32_e32 v2, s7
	s_waitcnt vmcnt(0)
	global_atomic_add_x2 v[0:1], v[2:3], off offset:8
.LBB1_20:
	s_or_b32 exec_lo, exec_lo, s6
	s_waitcnt vmcnt(0)
	global_load_dwordx2 v[2:3], v[0:1], off offset:16
	s_waitcnt vmcnt(0)
	v_cmp_eq_u64_e32 vcc_lo, 0, v[2:3]
	s_cbranch_vccnz .LBB1_22
; %bb.21:
	global_load_dword v0, v[0:1], off offset:24
	v_mov_b32_e32 v1, 0
	s_waitcnt vmcnt(0)
	v_readfirstlane_b32 s6, v0
	s_waitcnt_vscnt null, 0x0
	global_store_dwordx2 v[2:3], v[0:1], off
	s_and_b32 m0, s6, 0x7fffff
	s_sendmsg sendmsg(MSG_INTERRUPT)
.LBB1_22:
	s_or_b32 exec_lo, exec_lo, s1
	s_branch .LBB1_26
	.p2align	6
.LBB1_23:                               ;   in Loop: Header=BB1_26 Depth=1
	s_or_b32 exec_lo, exec_lo, s1
	v_readfirstlane_b32 s1, v0
	s_cmp_eq_u32 s1, 0
	s_cbranch_scc1 .LBB1_25
; %bb.24:                               ;   in Loop: Header=BB1_26 Depth=1
	s_sleep 1
	s_cbranch_execnz .LBB1_26
	s_branch .LBB1_28
	.p2align	6
.LBB1_25:
	s_branch .LBB1_28
.LBB1_26:                               ; =>This Inner Loop Header: Depth=1
	v_mov_b32_e32 v0, 1
	s_and_saveexec_b32 s1, s0
	s_cbranch_execz .LBB1_23
; %bb.27:                               ;   in Loop: Header=BB1_26 Depth=1
	global_load_dword v0, v[8:9], off offset:20 glc dlc
	s_waitcnt vmcnt(0)
	buffer_gl1_inv
	buffer_gl0_inv
	v_and_b32_e32 v0, 1, v0
	s_branch .LBB1_23
.LBB1_28:
	global_load_dwordx2 v[0:1], v[10:11], off
	s_and_saveexec_b32 s6, s0
	s_cbranch_execz .LBB1_32
; %bb.29:
	v_mov_b32_e32 v8, 0
	s_clause 0x2
	global_load_dwordx2 v[2:3], v8, s[2:3] offset:40
	global_load_dwordx2 v[11:12], v8, s[2:3] offset:24 glc dlc
	global_load_dwordx2 v[4:5], v8, s[2:3]
	s_waitcnt vmcnt(2)
	v_readfirstlane_b32 s8, v2
	v_readfirstlane_b32 s9, v3
	s_add_u32 s7, s8, 1
	s_addc_u32 s10, s9, 0
	s_add_u32 s0, s7, s4
	s_addc_u32 s1, s10, s5
	s_cmp_eq_u64 s[0:1], 0
	s_cselect_b32 s1, s10, s1
	s_cselect_b32 s0, s7, s0
	v_mov_b32_e32 v10, s1
	s_and_b64 s[4:5], s[0:1], s[8:9]
	v_mov_b32_e32 v9, s0
	s_mul_i32 s5, s5, 24
	s_mul_hi_u32 s7, s4, 24
	s_mul_i32 s4, s4, 24
	s_add_i32 s7, s7, s5
	s_waitcnt vmcnt(0)
	v_add_co_u32 v6, vcc_lo, v4, s4
	v_add_co_ci_u32_e64 v7, null, s7, v5, vcc_lo
	global_store_dwordx2 v[6:7], v[11:12], off
	s_waitcnt_vscnt null, 0x0
	global_atomic_cmpswap_x2 v[4:5], v8, v[9:12], s[2:3] offset:24 glc
	s_waitcnt vmcnt(0)
	v_cmp_ne_u64_e32 vcc_lo, v[4:5], v[11:12]
	s_and_b32 exec_lo, exec_lo, vcc_lo
	s_cbranch_execz .LBB1_32
; %bb.30:
	s_mov_b32 s4, 0
.LBB1_31:                               ; =>This Inner Loop Header: Depth=1
	v_mov_b32_e32 v2, s0
	v_mov_b32_e32 v3, s1
	s_sleep 1
	global_store_dwordx2 v[6:7], v[4:5], off
	s_waitcnt_vscnt null, 0x0
	global_atomic_cmpswap_x2 v[2:3], v8, v[2:5], s[2:3] offset:24 glc
	s_waitcnt vmcnt(0)
	v_cmp_eq_u64_e32 vcc_lo, v[2:3], v[4:5]
	v_mov_b32_e32 v5, v3
	v_mov_b32_e32 v4, v2
	s_or_b32 s4, vcc_lo, s4
	s_andn2_b32 exec_lo, exec_lo, s4
	s_cbranch_execnz .LBB1_31
.LBB1_32:
	s_or_b32 exec_lo, exec_lo, s6
	s_getpc_b64 s[4:5]
	s_add_u32 s4, s4, .str@rel32@lo+4
	s_addc_u32 s5, s5, .str@rel32@hi+12
	s_cmp_lg_u64 s[4:5], 0
	s_cbranch_scc0 .LBB1_111
; %bb.33:
	s_waitcnt vmcnt(0)
	v_and_b32_e32 v34, 2, v0
	v_mov_b32_e32 v7, 0
	v_and_b32_e32 v2, -3, v0
	v_mov_b32_e32 v3, v1
	v_mov_b32_e32 v8, 2
	v_mov_b32_e32 v9, 1
	s_mov_b64 s[6:7], 31
	s_branch .LBB1_35
.LBB1_34:                               ;   in Loop: Header=BB1_35 Depth=1
	s_or_b32 exec_lo, exec_lo, s12
	s_sub_u32 s6, s6, s8
	s_subb_u32 s7, s7, s9
	s_add_u32 s4, s4, s8
	s_addc_u32 s5, s5, s9
	s_cmp_lg_u64 s[6:7], 0
	s_cbranch_scc0 .LBB1_110
.LBB1_35:                               ; =>This Loop Header: Depth=1
                                        ;     Child Loop BB1_38 Depth 2
                                        ;     Child Loop BB1_45 Depth 2
	;; [unrolled: 1-line block ×11, first 2 shown]
	v_cmp_lt_u64_e64 s0, s[6:7], 56
	v_cmp_gt_u64_e64 s10, s[6:7], 7
	s_and_b32 s0, s0, exec_lo
	s_cselect_b32 s9, s7, 0
	s_cselect_b32 s8, s6, 56
	s_add_u32 s0, s4, 8
	s_addc_u32 s1, s5, 0
	s_and_b32 vcc_lo, exec_lo, s10
	s_cbranch_vccnz .LBB1_40
; %bb.36:                               ;   in Loop: Header=BB1_35 Depth=1
	v_mov_b32_e32 v4, 0
	v_mov_b32_e32 v5, 0
	s_cmp_eq_u64 s[6:7], 0
	s_cbranch_scc1 .LBB1_39
; %bb.37:                               ;   in Loop: Header=BB1_35 Depth=1
	s_lshl_b64 s[0:1], s[8:9], 3
	s_mov_b64 s[10:11], 0
	s_mov_b64 s[12:13], s[4:5]
.LBB1_38:                               ;   Parent Loop BB1_35 Depth=1
                                        ; =>  This Inner Loop Header: Depth=2
	global_load_ubyte v6, v7, s[12:13]
	s_waitcnt vmcnt(0)
	v_and_b32_e32 v6, 0xffff, v6
	v_lshlrev_b64 v[10:11], s10, v[6:7]
	s_add_u32 s10, s10, 8
	s_addc_u32 s11, s11, 0
	s_add_u32 s12, s12, 1
	s_addc_u32 s13, s13, 0
	s_cmp_lg_u32 s0, s10
	v_or_b32_e32 v4, v10, v4
	v_or_b32_e32 v5, v11, v5
	s_cbranch_scc1 .LBB1_38
.LBB1_39:                               ;   in Loop: Header=BB1_35 Depth=1
	s_mov_b64 s[0:1], s[4:5]
	s_mov_b32 s14, 0
	s_cbranch_execz .LBB1_41
	s_branch .LBB1_42
.LBB1_40:                               ;   in Loop: Header=BB1_35 Depth=1
	s_mov_b32 s14, 0
.LBB1_41:                               ;   in Loop: Header=BB1_35 Depth=1
	global_load_dwordx2 v[4:5], v7, s[4:5]
	s_add_i32 s14, s8, -8
.LBB1_42:                               ;   in Loop: Header=BB1_35 Depth=1
	s_add_u32 s10, s0, 8
	s_addc_u32 s11, s1, 0
	s_cmp_gt_u32 s14, 7
	s_cbranch_scc1 .LBB1_47
; %bb.43:                               ;   in Loop: Header=BB1_35 Depth=1
	v_mov_b32_e32 v10, 0
	v_mov_b32_e32 v11, 0
	s_cmp_eq_u32 s14, 0
	s_cbranch_scc1 .LBB1_46
; %bb.44:                               ;   in Loop: Header=BB1_35 Depth=1
	s_mov_b64 s[10:11], 0
	s_mov_b64 s[12:13], 0
.LBB1_45:                               ;   Parent Loop BB1_35 Depth=1
                                        ; =>  This Inner Loop Header: Depth=2
	s_add_u32 s16, s0, s12
	s_addc_u32 s17, s1, s13
	s_add_u32 s12, s12, 1
	global_load_ubyte v6, v7, s[16:17]
	s_addc_u32 s13, s13, 0
	s_waitcnt vmcnt(0)
	v_and_b32_e32 v6, 0xffff, v6
	v_lshlrev_b64 v[12:13], s10, v[6:7]
	s_add_u32 s10, s10, 8
	s_addc_u32 s11, s11, 0
	s_cmp_lg_u32 s14, s12
	v_or_b32_e32 v10, v12, v10
	v_or_b32_e32 v11, v13, v11
	s_cbranch_scc1 .LBB1_45
.LBB1_46:                               ;   in Loop: Header=BB1_35 Depth=1
	s_mov_b64 s[10:11], s[0:1]
	s_mov_b32 s15, 0
	s_cbranch_execz .LBB1_48
	s_branch .LBB1_49
.LBB1_47:                               ;   in Loop: Header=BB1_35 Depth=1
                                        ; implicit-def: $vgpr10_vgpr11
	s_mov_b32 s15, 0
.LBB1_48:                               ;   in Loop: Header=BB1_35 Depth=1
	global_load_dwordx2 v[10:11], v7, s[0:1]
	s_add_i32 s15, s14, -8
.LBB1_49:                               ;   in Loop: Header=BB1_35 Depth=1
	s_add_u32 s0, s10, 8
	s_addc_u32 s1, s11, 0
	s_cmp_gt_u32 s15, 7
	s_cbranch_scc1 .LBB1_54
; %bb.50:                               ;   in Loop: Header=BB1_35 Depth=1
	v_mov_b32_e32 v12, 0
	v_mov_b32_e32 v13, 0
	s_cmp_eq_u32 s15, 0
	s_cbranch_scc1 .LBB1_53
; %bb.51:                               ;   in Loop: Header=BB1_35 Depth=1
	s_mov_b64 s[0:1], 0
	s_mov_b64 s[12:13], 0
.LBB1_52:                               ;   Parent Loop BB1_35 Depth=1
                                        ; =>  This Inner Loop Header: Depth=2
	s_add_u32 s16, s10, s12
	s_addc_u32 s17, s11, s13
	s_add_u32 s12, s12, 1
	global_load_ubyte v6, v7, s[16:17]
	s_addc_u32 s13, s13, 0
	s_waitcnt vmcnt(0)
	v_and_b32_e32 v6, 0xffff, v6
	v_lshlrev_b64 v[14:15], s0, v[6:7]
	s_add_u32 s0, s0, 8
	s_addc_u32 s1, s1, 0
	s_cmp_lg_u32 s15, s12
	v_or_b32_e32 v12, v14, v12
	v_or_b32_e32 v13, v15, v13
	s_cbranch_scc1 .LBB1_52
.LBB1_53:                               ;   in Loop: Header=BB1_35 Depth=1
	s_mov_b64 s[0:1], s[10:11]
	s_mov_b32 s14, 0
	s_cbranch_execz .LBB1_55
	s_branch .LBB1_56
.LBB1_54:                               ;   in Loop: Header=BB1_35 Depth=1
	s_mov_b32 s14, 0
.LBB1_55:                               ;   in Loop: Header=BB1_35 Depth=1
	global_load_dwordx2 v[12:13], v7, s[10:11]
	s_add_i32 s14, s15, -8
.LBB1_56:                               ;   in Loop: Header=BB1_35 Depth=1
	s_add_u32 s10, s0, 8
	s_addc_u32 s11, s1, 0
	s_cmp_gt_u32 s14, 7
	s_cbranch_scc1 .LBB1_61
; %bb.57:                               ;   in Loop: Header=BB1_35 Depth=1
	v_mov_b32_e32 v14, 0
	v_mov_b32_e32 v15, 0
	s_cmp_eq_u32 s14, 0
	s_cbranch_scc1 .LBB1_60
; %bb.58:                               ;   in Loop: Header=BB1_35 Depth=1
	s_mov_b64 s[10:11], 0
	s_mov_b64 s[12:13], 0
.LBB1_59:                               ;   Parent Loop BB1_35 Depth=1
                                        ; =>  This Inner Loop Header: Depth=2
	s_add_u32 s16, s0, s12
	s_addc_u32 s17, s1, s13
	s_add_u32 s12, s12, 1
	global_load_ubyte v6, v7, s[16:17]
	s_addc_u32 s13, s13, 0
	s_waitcnt vmcnt(0)
	v_and_b32_e32 v6, 0xffff, v6
	v_lshlrev_b64 v[16:17], s10, v[6:7]
	s_add_u32 s10, s10, 8
	s_addc_u32 s11, s11, 0
	s_cmp_lg_u32 s14, s12
	v_or_b32_e32 v14, v16, v14
	v_or_b32_e32 v15, v17, v15
	s_cbranch_scc1 .LBB1_59
.LBB1_60:                               ;   in Loop: Header=BB1_35 Depth=1
	s_mov_b64 s[10:11], s[0:1]
	s_mov_b32 s15, 0
	s_cbranch_execz .LBB1_62
	s_branch .LBB1_63
.LBB1_61:                               ;   in Loop: Header=BB1_35 Depth=1
                                        ; implicit-def: $vgpr14_vgpr15
	s_mov_b32 s15, 0
.LBB1_62:                               ;   in Loop: Header=BB1_35 Depth=1
	global_load_dwordx2 v[14:15], v7, s[0:1]
	s_add_i32 s15, s14, -8
.LBB1_63:                               ;   in Loop: Header=BB1_35 Depth=1
	s_add_u32 s0, s10, 8
	s_addc_u32 s1, s11, 0
	s_cmp_gt_u32 s15, 7
	s_cbranch_scc1 .LBB1_68
; %bb.64:                               ;   in Loop: Header=BB1_35 Depth=1
	v_mov_b32_e32 v16, 0
	v_mov_b32_e32 v17, 0
	s_cmp_eq_u32 s15, 0
	s_cbranch_scc1 .LBB1_67
; %bb.65:                               ;   in Loop: Header=BB1_35 Depth=1
	s_mov_b64 s[0:1], 0
	s_mov_b64 s[12:13], 0
.LBB1_66:                               ;   Parent Loop BB1_35 Depth=1
                                        ; =>  This Inner Loop Header: Depth=2
	s_add_u32 s16, s10, s12
	s_addc_u32 s17, s11, s13
	s_add_u32 s12, s12, 1
	global_load_ubyte v6, v7, s[16:17]
	s_addc_u32 s13, s13, 0
	s_waitcnt vmcnt(0)
	v_and_b32_e32 v6, 0xffff, v6
	v_lshlrev_b64 v[18:19], s0, v[6:7]
	s_add_u32 s0, s0, 8
	s_addc_u32 s1, s1, 0
	s_cmp_lg_u32 s15, s12
	v_or_b32_e32 v16, v18, v16
	v_or_b32_e32 v17, v19, v17
	s_cbranch_scc1 .LBB1_66
.LBB1_67:                               ;   in Loop: Header=BB1_35 Depth=1
	s_mov_b64 s[0:1], s[10:11]
	s_mov_b32 s14, 0
	s_cbranch_execz .LBB1_69
	s_branch .LBB1_70
.LBB1_68:                               ;   in Loop: Header=BB1_35 Depth=1
	s_mov_b32 s14, 0
.LBB1_69:                               ;   in Loop: Header=BB1_35 Depth=1
	global_load_dwordx2 v[16:17], v7, s[10:11]
	s_add_i32 s14, s15, -8
.LBB1_70:                               ;   in Loop: Header=BB1_35 Depth=1
	s_add_u32 s10, s0, 8
	s_addc_u32 s11, s1, 0
	s_cmp_gt_u32 s14, 7
	s_cbranch_scc1 .LBB1_75
; %bb.71:                               ;   in Loop: Header=BB1_35 Depth=1
	v_mov_b32_e32 v18, 0
	v_mov_b32_e32 v19, 0
	s_cmp_eq_u32 s14, 0
	s_cbranch_scc1 .LBB1_74
; %bb.72:                               ;   in Loop: Header=BB1_35 Depth=1
	s_mov_b64 s[10:11], 0
	s_mov_b64 s[12:13], 0
.LBB1_73:                               ;   Parent Loop BB1_35 Depth=1
                                        ; =>  This Inner Loop Header: Depth=2
	s_add_u32 s16, s0, s12
	s_addc_u32 s17, s1, s13
	s_add_u32 s12, s12, 1
	global_load_ubyte v6, v7, s[16:17]
	s_addc_u32 s13, s13, 0
	s_waitcnt vmcnt(0)
	v_and_b32_e32 v6, 0xffff, v6
	v_lshlrev_b64 v[20:21], s10, v[6:7]
	s_add_u32 s10, s10, 8
	s_addc_u32 s11, s11, 0
	s_cmp_lg_u32 s14, s12
	v_or_b32_e32 v18, v20, v18
	v_or_b32_e32 v19, v21, v19
	s_cbranch_scc1 .LBB1_73
.LBB1_74:                               ;   in Loop: Header=BB1_35 Depth=1
	s_mov_b64 s[10:11], s[0:1]
	s_mov_b32 s15, 0
	s_cbranch_execz .LBB1_76
	s_branch .LBB1_77
.LBB1_75:                               ;   in Loop: Header=BB1_35 Depth=1
                                        ; implicit-def: $vgpr18_vgpr19
	s_mov_b32 s15, 0
.LBB1_76:                               ;   in Loop: Header=BB1_35 Depth=1
	global_load_dwordx2 v[18:19], v7, s[0:1]
	s_add_i32 s15, s14, -8
.LBB1_77:                               ;   in Loop: Header=BB1_35 Depth=1
	s_cmp_gt_u32 s15, 7
	s_cbranch_scc1 .LBB1_82
; %bb.78:                               ;   in Loop: Header=BB1_35 Depth=1
	v_mov_b32_e32 v20, 0
	v_mov_b32_e32 v21, 0
	s_cmp_eq_u32 s15, 0
	s_cbranch_scc1 .LBB1_81
; %bb.79:                               ;   in Loop: Header=BB1_35 Depth=1
	s_mov_b64 s[0:1], 0
	s_mov_b64 s[12:13], s[10:11]
.LBB1_80:                               ;   Parent Loop BB1_35 Depth=1
                                        ; =>  This Inner Loop Header: Depth=2
	global_load_ubyte v6, v7, s[12:13]
	s_add_i32 s15, s15, -1
	s_waitcnt vmcnt(0)
	v_and_b32_e32 v6, 0xffff, v6
	v_lshlrev_b64 v[22:23], s0, v[6:7]
	s_add_u32 s0, s0, 8
	s_addc_u32 s1, s1, 0
	s_add_u32 s12, s12, 1
	s_addc_u32 s13, s13, 0
	s_cmp_lg_u32 s15, 0
	v_or_b32_e32 v20, v22, v20
	v_or_b32_e32 v21, v23, v21
	s_cbranch_scc1 .LBB1_80
.LBB1_81:                               ;   in Loop: Header=BB1_35 Depth=1
	s_cbranch_execz .LBB1_83
	s_branch .LBB1_84
.LBB1_82:                               ;   in Loop: Header=BB1_35 Depth=1
.LBB1_83:                               ;   in Loop: Header=BB1_35 Depth=1
	global_load_dwordx2 v[20:21], v7, s[10:11]
.LBB1_84:                               ;   in Loop: Header=BB1_35 Depth=1
	v_readfirstlane_b32 s0, v31
	v_mov_b32_e32 v27, 0
	v_mov_b32_e32 v28, 0
	v_cmp_eq_u32_e64 s0, s0, v31
	s_and_saveexec_b32 s1, s0
	s_cbranch_execz .LBB1_90
; %bb.85:                               ;   in Loop: Header=BB1_35 Depth=1
	global_load_dwordx2 v[24:25], v7, s[2:3] offset:24 glc dlc
	s_waitcnt vmcnt(0)
	buffer_gl1_inv
	buffer_gl0_inv
	s_clause 0x1
	global_load_dwordx2 v[22:23], v7, s[2:3] offset:40
	global_load_dwordx2 v[27:28], v7, s[2:3]
	s_mov_b32 s10, exec_lo
	s_waitcnt vmcnt(1)
	v_and_b32_e32 v6, v23, v25
	v_and_b32_e32 v22, v22, v24
	v_mul_lo_u32 v6, v6, 24
	v_mul_hi_u32 v23, v22, 24
	v_mul_lo_u32 v22, v22, 24
	v_add_nc_u32_e32 v6, v23, v6
	s_waitcnt vmcnt(0)
	v_add_co_u32 v22, vcc_lo, v27, v22
	v_add_co_ci_u32_e64 v23, null, v28, v6, vcc_lo
	global_load_dwordx2 v[22:23], v[22:23], off glc dlc
	s_waitcnt vmcnt(0)
	global_atomic_cmpswap_x2 v[27:28], v7, v[22:25], s[2:3] offset:24 glc
	s_waitcnt vmcnt(0)
	buffer_gl1_inv
	buffer_gl0_inv
	v_cmpx_ne_u64_e64 v[27:28], v[24:25]
	s_cbranch_execz .LBB1_89
; %bb.86:                               ;   in Loop: Header=BB1_35 Depth=1
	s_mov_b32 s11, 0
	.p2align	6
.LBB1_87:                               ;   Parent Loop BB1_35 Depth=1
                                        ; =>  This Inner Loop Header: Depth=2
	s_sleep 1
	s_clause 0x1
	global_load_dwordx2 v[22:23], v7, s[2:3] offset:40
	global_load_dwordx2 v[35:36], v7, s[2:3]
	v_mov_b32_e32 v24, v27
	v_mov_b32_e32 v25, v28
	s_waitcnt vmcnt(1)
	v_and_b32_e32 v6, v22, v24
	v_and_b32_e32 v22, v23, v25
	s_waitcnt vmcnt(0)
	v_mad_u64_u32 v[27:28], null, v6, 24, v[35:36]
	v_mov_b32_e32 v6, v28
	v_mad_u64_u32 v[22:23], null, v22, 24, v[6:7]
	v_mov_b32_e32 v28, v22
	global_load_dwordx2 v[22:23], v[27:28], off glc dlc
	s_waitcnt vmcnt(0)
	global_atomic_cmpswap_x2 v[27:28], v7, v[22:25], s[2:3] offset:24 glc
	s_waitcnt vmcnt(0)
	buffer_gl1_inv
	buffer_gl0_inv
	v_cmp_eq_u64_e32 vcc_lo, v[27:28], v[24:25]
	s_or_b32 s11, vcc_lo, s11
	s_andn2_b32 exec_lo, exec_lo, s11
	s_cbranch_execnz .LBB1_87
; %bb.88:                               ;   in Loop: Header=BB1_35 Depth=1
	s_or_b32 exec_lo, exec_lo, s11
.LBB1_89:                               ;   in Loop: Header=BB1_35 Depth=1
	s_or_b32 exec_lo, exec_lo, s10
.LBB1_90:                               ;   in Loop: Header=BB1_35 Depth=1
	s_or_b32 exec_lo, exec_lo, s1
	s_clause 0x1
	global_load_dwordx2 v[35:36], v7, s[2:3] offset:40
	global_load_dwordx4 v[22:25], v7, s[2:3]
	v_readfirstlane_b32 s11, v28
	v_readfirstlane_b32 s10, v27
	s_mov_b32 s1, exec_lo
	s_waitcnt vmcnt(1)
	v_readfirstlane_b32 s12, v35
	v_readfirstlane_b32 s13, v36
	s_and_b64 s[12:13], s[12:13], s[10:11]
	s_mul_i32 s14, s13, 24
	s_mul_hi_u32 s15, s12, 24
	s_mul_i32 s16, s12, 24
	s_add_i32 s15, s15, s14
	s_waitcnt vmcnt(0)
	v_add_co_u32 v27, vcc_lo, v22, s16
	v_add_co_ci_u32_e64 v28, null, s15, v23, vcc_lo
	s_and_saveexec_b32 s14, s0
	s_cbranch_execz .LBB1_92
; %bb.91:                               ;   in Loop: Header=BB1_35 Depth=1
	v_mov_b32_e32 v6, s1
	global_store_dwordx4 v[27:28], v[6:9], off offset:8
.LBB1_92:                               ;   in Loop: Header=BB1_35 Depth=1
	s_or_b32 exec_lo, exec_lo, s14
	v_cmp_lt_u64_e64 vcc_lo, s[6:7], 57
	s_lshl_b64 s[12:13], s[12:13], 12
	v_and_b32_e32 v2, 0xffffff1f, v2
	s_lshl_b32 s1, s8, 2
	s_add_i32 s1, s1, 28
	v_cndmask_b32_e32 v6, 0, v34, vcc_lo
	v_add_co_u32 v24, vcc_lo, v24, s12
	v_add_co_ci_u32_e64 v25, null, s13, v25, vcc_lo
	v_or_b32_e32 v2, v2, v6
	v_readfirstlane_b32 s12, v24
	v_readfirstlane_b32 s13, v25
	v_and_or_b32 v2, 0x1e0, s1, v2
	global_store_dwordx4 v30, v[10:13], s[12:13] offset:16
	global_store_dwordx4 v30, v[2:5], s[12:13]
	global_store_dwordx4 v30, v[14:17], s[12:13] offset:32
	global_store_dwordx4 v30, v[18:21], s[12:13] offset:48
	s_and_saveexec_b32 s1, s0
	s_cbranch_execz .LBB1_100
; %bb.93:                               ;   in Loop: Header=BB1_35 Depth=1
	s_clause 0x1
	global_load_dwordx2 v[14:15], v7, s[2:3] offset:32 glc dlc
	global_load_dwordx2 v[2:3], v7, s[2:3] offset:40
	v_mov_b32_e32 v12, s10
	v_mov_b32_e32 v13, s11
	s_waitcnt vmcnt(0)
	v_readfirstlane_b32 s12, v2
	v_readfirstlane_b32 s13, v3
	s_and_b64 s[12:13], s[12:13], s[10:11]
	s_mul_i32 s13, s13, 24
	s_mul_hi_u32 s14, s12, 24
	s_mul_i32 s12, s12, 24
	s_add_i32 s14, s14, s13
	v_add_co_u32 v10, vcc_lo, v22, s12
	v_add_co_ci_u32_e64 v11, null, s14, v23, vcc_lo
	s_mov_b32 s12, exec_lo
	global_store_dwordx2 v[10:11], v[14:15], off
	s_waitcnt_vscnt null, 0x0
	global_atomic_cmpswap_x2 v[4:5], v7, v[12:15], s[2:3] offset:32 glc
	s_waitcnt vmcnt(0)
	v_cmpx_ne_u64_e64 v[4:5], v[14:15]
	s_cbranch_execz .LBB1_96
; %bb.94:                               ;   in Loop: Header=BB1_35 Depth=1
	s_mov_b32 s13, 0
.LBB1_95:                               ;   Parent Loop BB1_35 Depth=1
                                        ; =>  This Inner Loop Header: Depth=2
	v_mov_b32_e32 v2, s10
	v_mov_b32_e32 v3, s11
	s_sleep 1
	global_store_dwordx2 v[10:11], v[4:5], off
	s_waitcnt_vscnt null, 0x0
	global_atomic_cmpswap_x2 v[2:3], v7, v[2:5], s[2:3] offset:32 glc
	s_waitcnt vmcnt(0)
	v_cmp_eq_u64_e32 vcc_lo, v[2:3], v[4:5]
	v_mov_b32_e32 v5, v3
	v_mov_b32_e32 v4, v2
	s_or_b32 s13, vcc_lo, s13
	s_andn2_b32 exec_lo, exec_lo, s13
	s_cbranch_execnz .LBB1_95
.LBB1_96:                               ;   in Loop: Header=BB1_35 Depth=1
	s_or_b32 exec_lo, exec_lo, s12
	global_load_dwordx2 v[2:3], v7, s[2:3] offset:16
	s_mov_b32 s13, exec_lo
	s_mov_b32 s12, exec_lo
	v_mbcnt_lo_u32_b32 v4, s13, 0
	v_cmpx_eq_u32_e32 0, v4
	s_cbranch_execz .LBB1_98
; %bb.97:                               ;   in Loop: Header=BB1_35 Depth=1
	s_bcnt1_i32_b32 s13, s13
	v_mov_b32_e32 v6, s13
	s_waitcnt vmcnt(0)
	global_atomic_add_x2 v[2:3], v[6:7], off offset:8
.LBB1_98:                               ;   in Loop: Header=BB1_35 Depth=1
	s_or_b32 exec_lo, exec_lo, s12
	s_waitcnt vmcnt(0)
	global_load_dwordx2 v[4:5], v[2:3], off offset:16
	s_waitcnt vmcnt(0)
	v_cmp_eq_u64_e32 vcc_lo, 0, v[4:5]
	s_cbranch_vccnz .LBB1_100
; %bb.99:                               ;   in Loop: Header=BB1_35 Depth=1
	global_load_dword v6, v[2:3], off offset:24
	s_waitcnt vmcnt(0)
	v_readfirstlane_b32 s12, v6
	s_waitcnt_vscnt null, 0x0
	global_store_dwordx2 v[4:5], v[6:7], off
	s_and_b32 m0, s12, 0x7fffff
	s_sendmsg sendmsg(MSG_INTERRUPT)
.LBB1_100:                              ;   in Loop: Header=BB1_35 Depth=1
	s_or_b32 exec_lo, exec_lo, s1
	v_add_co_u32 v2, vcc_lo, v24, v30
	v_add_co_ci_u32_e64 v3, null, 0, v25, vcc_lo
	s_branch .LBB1_104
	.p2align	6
.LBB1_101:                              ;   in Loop: Header=BB1_104 Depth=2
	s_or_b32 exec_lo, exec_lo, s1
	v_readfirstlane_b32 s1, v4
	s_cmp_eq_u32 s1, 0
	s_cbranch_scc1 .LBB1_103
; %bb.102:                              ;   in Loop: Header=BB1_104 Depth=2
	s_sleep 1
	s_cbranch_execnz .LBB1_104
	s_branch .LBB1_106
	.p2align	6
.LBB1_103:                              ;   in Loop: Header=BB1_35 Depth=1
	s_branch .LBB1_106
.LBB1_104:                              ;   Parent Loop BB1_35 Depth=1
                                        ; =>  This Inner Loop Header: Depth=2
	v_mov_b32_e32 v4, 1
	s_and_saveexec_b32 s1, s0
	s_cbranch_execz .LBB1_101
; %bb.105:                              ;   in Loop: Header=BB1_104 Depth=2
	global_load_dword v4, v[27:28], off offset:20 glc dlc
	s_waitcnt vmcnt(0)
	buffer_gl1_inv
	buffer_gl0_inv
	v_and_b32_e32 v4, 1, v4
	s_branch .LBB1_101
.LBB1_106:                              ;   in Loop: Header=BB1_35 Depth=1
	global_load_dwordx2 v[2:3], v[2:3], off
	s_and_saveexec_b32 s12, s0
	s_cbranch_execz .LBB1_34
; %bb.107:                              ;   in Loop: Header=BB1_35 Depth=1
	s_clause 0x2
	global_load_dwordx2 v[4:5], v7, s[2:3] offset:40
	global_load_dwordx2 v[14:15], v7, s[2:3] offset:24 glc dlc
	global_load_dwordx2 v[10:11], v7, s[2:3]
	s_waitcnt vmcnt(2)
	v_readfirstlane_b32 s14, v4
	v_readfirstlane_b32 s15, v5
	s_add_u32 s13, s14, 1
	s_addc_u32 s16, s15, 0
	s_add_u32 s0, s13, s10
	s_addc_u32 s1, s16, s11
	s_cmp_eq_u64 s[0:1], 0
	s_cselect_b32 s1, s16, s1
	s_cselect_b32 s0, s13, s0
	v_mov_b32_e32 v13, s1
	s_and_b64 s[10:11], s[0:1], s[14:15]
	v_mov_b32_e32 v12, s0
	s_mul_i32 s11, s11, 24
	s_mul_hi_u32 s13, s10, 24
	s_mul_i32 s10, s10, 24
	s_add_i32 s13, s13, s11
	s_waitcnt vmcnt(0)
	v_add_co_u32 v4, vcc_lo, v10, s10
	v_add_co_ci_u32_e64 v5, null, s13, v11, vcc_lo
	global_store_dwordx2 v[4:5], v[14:15], off
	s_waitcnt_vscnt null, 0x0
	global_atomic_cmpswap_x2 v[12:13], v7, v[12:15], s[2:3] offset:24 glc
	s_waitcnt vmcnt(0)
	v_cmp_ne_u64_e32 vcc_lo, v[12:13], v[14:15]
	s_and_b32 exec_lo, exec_lo, vcc_lo
	s_cbranch_execz .LBB1_34
; %bb.108:                              ;   in Loop: Header=BB1_35 Depth=1
	s_mov_b32 s10, 0
.LBB1_109:                              ;   Parent Loop BB1_35 Depth=1
                                        ; =>  This Inner Loop Header: Depth=2
	v_mov_b32_e32 v10, s0
	v_mov_b32_e32 v11, s1
	s_sleep 1
	global_store_dwordx2 v[4:5], v[12:13], off
	s_waitcnt_vscnt null, 0x0
	global_atomic_cmpswap_x2 v[10:11], v7, v[10:13], s[2:3] offset:24 glc
	s_waitcnt vmcnt(0)
	v_cmp_eq_u64_e32 vcc_lo, v[10:11], v[12:13]
	v_mov_b32_e32 v13, v11
	v_mov_b32_e32 v12, v10
	s_or_b32 s10, vcc_lo, s10
	s_andn2_b32 exec_lo, exec_lo, s10
	s_cbranch_execnz .LBB1_109
	s_branch .LBB1_34
.LBB1_110:
	s_branch .LBB1_139
.LBB1_111:
                                        ; implicit-def: $vgpr2_vgpr3
	s_cbranch_execz .LBB1_139
; %bb.112:
	v_readfirstlane_b32 s0, v31
	v_mov_b32_e32 v8, 0
	v_mov_b32_e32 v9, 0
	v_cmp_eq_u32_e64 s0, s0, v31
	s_and_saveexec_b32 s1, s0
	s_cbranch_execz .LBB1_118
; %bb.113:
	s_waitcnt vmcnt(0)
	v_mov_b32_e32 v2, 0
	s_mov_b32 s4, exec_lo
	global_load_dwordx2 v[5:6], v2, s[2:3] offset:24 glc dlc
	s_waitcnt vmcnt(0)
	buffer_gl1_inv
	buffer_gl0_inv
	s_clause 0x1
	global_load_dwordx2 v[3:4], v2, s[2:3] offset:40
	global_load_dwordx2 v[7:8], v2, s[2:3]
	s_waitcnt vmcnt(1)
	v_and_b32_e32 v4, v4, v6
	v_and_b32_e32 v3, v3, v5
	v_mul_lo_u32 v4, v4, 24
	v_mul_hi_u32 v9, v3, 24
	v_mul_lo_u32 v3, v3, 24
	v_add_nc_u32_e32 v4, v9, v4
	s_waitcnt vmcnt(0)
	v_add_co_u32 v3, vcc_lo, v7, v3
	v_add_co_ci_u32_e64 v4, null, v8, v4, vcc_lo
	global_load_dwordx2 v[3:4], v[3:4], off glc dlc
	s_waitcnt vmcnt(0)
	global_atomic_cmpswap_x2 v[8:9], v2, v[3:6], s[2:3] offset:24 glc
	s_waitcnt vmcnt(0)
	buffer_gl1_inv
	buffer_gl0_inv
	v_cmpx_ne_u64_e64 v[8:9], v[5:6]
	s_cbranch_execz .LBB1_117
; %bb.114:
	s_mov_b32 s5, 0
	.p2align	6
.LBB1_115:                              ; =>This Inner Loop Header: Depth=1
	s_sleep 1
	s_clause 0x1
	global_load_dwordx2 v[3:4], v2, s[2:3] offset:40
	global_load_dwordx2 v[10:11], v2, s[2:3]
	v_mov_b32_e32 v5, v8
	v_mov_b32_e32 v6, v9
	s_waitcnt vmcnt(1)
	v_and_b32_e32 v3, v3, v5
	v_and_b32_e32 v4, v4, v6
	s_waitcnt vmcnt(0)
	v_mad_u64_u32 v[7:8], null, v3, 24, v[10:11]
	v_mov_b32_e32 v3, v8
	v_mad_u64_u32 v[3:4], null, v4, 24, v[3:4]
	v_mov_b32_e32 v8, v3
	global_load_dwordx2 v[3:4], v[7:8], off glc dlc
	s_waitcnt vmcnt(0)
	global_atomic_cmpswap_x2 v[8:9], v2, v[3:6], s[2:3] offset:24 glc
	s_waitcnt vmcnt(0)
	buffer_gl1_inv
	buffer_gl0_inv
	v_cmp_eq_u64_e32 vcc_lo, v[8:9], v[5:6]
	s_or_b32 s5, vcc_lo, s5
	s_andn2_b32 exec_lo, exec_lo, s5
	s_cbranch_execnz .LBB1_115
; %bb.116:
	s_or_b32 exec_lo, exec_lo, s5
.LBB1_117:
	s_or_b32 exec_lo, exec_lo, s4
.LBB1_118:
	s_or_b32 exec_lo, exec_lo, s1
	s_waitcnt vmcnt(0)
	v_mov_b32_e32 v2, 0
	v_readfirstlane_b32 s5, v9
	v_readfirstlane_b32 s4, v8
	s_mov_b32 s1, exec_lo
	s_clause 0x1
	global_load_dwordx2 v[10:11], v2, s[2:3] offset:40
	global_load_dwordx4 v[4:7], v2, s[2:3]
	s_waitcnt vmcnt(1)
	v_readfirstlane_b32 s6, v10
	v_readfirstlane_b32 s7, v11
	s_and_b64 s[6:7], s[6:7], s[4:5]
	s_mul_i32 s8, s7, 24
	s_mul_hi_u32 s9, s6, 24
	s_mul_i32 s10, s6, 24
	s_add_i32 s9, s9, s8
	s_waitcnt vmcnt(0)
	v_add_co_u32 v8, vcc_lo, v4, s10
	v_add_co_ci_u32_e64 v9, null, s9, v5, vcc_lo
	s_and_saveexec_b32 s8, s0
	s_cbranch_execz .LBB1_120
; %bb.119:
	v_mov_b32_e32 v10, s1
	v_mov_b32_e32 v11, v2
	;; [unrolled: 1-line block ×4, first 2 shown]
	global_store_dwordx4 v[8:9], v[10:13], off offset:8
.LBB1_120:
	s_or_b32 exec_lo, exec_lo, s8
	s_lshl_b64 s[6:7], s[6:7], 12
	s_mov_b32 s8, 0
	v_add_co_u32 v6, vcc_lo, v6, s6
	v_add_co_ci_u32_e64 v7, null, s7, v7, vcc_lo
	s_mov_b32 s11, s8
	v_readfirstlane_b32 s6, v6
	v_add_co_u32 v6, vcc_lo, v6, v30
	s_mov_b32 s9, s8
	s_mov_b32 s10, s8
	v_and_or_b32 v0, 0xffffff1f, v0, 32
	v_mov_b32_e32 v3, v2
	v_readfirstlane_b32 s7, v7
	v_mov_b32_e32 v13, s11
	v_add_co_ci_u32_e64 v7, null, 0, v7, vcc_lo
	v_mov_b32_e32 v12, s10
	v_mov_b32_e32 v11, s9
	;; [unrolled: 1-line block ×3, first 2 shown]
	global_store_dwordx4 v30, v[0:3], s[6:7]
	global_store_dwordx4 v30, v[10:13], s[6:7] offset:16
	global_store_dwordx4 v30, v[10:13], s[6:7] offset:32
	;; [unrolled: 1-line block ×3, first 2 shown]
	s_and_saveexec_b32 s1, s0
	s_cbranch_execz .LBB1_128
; %bb.121:
	v_mov_b32_e32 v10, 0
	v_mov_b32_e32 v11, s4
	;; [unrolled: 1-line block ×3, first 2 shown]
	s_clause 0x1
	global_load_dwordx2 v[13:14], v10, s[2:3] offset:32 glc dlc
	global_load_dwordx2 v[0:1], v10, s[2:3] offset:40
	s_waitcnt vmcnt(0)
	v_readfirstlane_b32 s6, v0
	v_readfirstlane_b32 s7, v1
	s_and_b64 s[6:7], s[6:7], s[4:5]
	s_mul_i32 s7, s7, 24
	s_mul_hi_u32 s8, s6, 24
	s_mul_i32 s6, s6, 24
	s_add_i32 s8, s8, s7
	v_add_co_u32 v4, vcc_lo, v4, s6
	v_add_co_ci_u32_e64 v5, null, s8, v5, vcc_lo
	s_mov_b32 s6, exec_lo
	global_store_dwordx2 v[4:5], v[13:14], off
	s_waitcnt_vscnt null, 0x0
	global_atomic_cmpswap_x2 v[2:3], v10, v[11:14], s[2:3] offset:32 glc
	s_waitcnt vmcnt(0)
	v_cmpx_ne_u64_e64 v[2:3], v[13:14]
	s_cbranch_execz .LBB1_124
; %bb.122:
	s_mov_b32 s7, 0
.LBB1_123:                              ; =>This Inner Loop Header: Depth=1
	v_mov_b32_e32 v0, s4
	v_mov_b32_e32 v1, s5
	s_sleep 1
	global_store_dwordx2 v[4:5], v[2:3], off
	s_waitcnt_vscnt null, 0x0
	global_atomic_cmpswap_x2 v[0:1], v10, v[0:3], s[2:3] offset:32 glc
	s_waitcnt vmcnt(0)
	v_cmp_eq_u64_e32 vcc_lo, v[0:1], v[2:3]
	v_mov_b32_e32 v3, v1
	v_mov_b32_e32 v2, v0
	s_or_b32 s7, vcc_lo, s7
	s_andn2_b32 exec_lo, exec_lo, s7
	s_cbranch_execnz .LBB1_123
.LBB1_124:
	s_or_b32 exec_lo, exec_lo, s6
	v_mov_b32_e32 v3, 0
	s_mov_b32 s7, exec_lo
	s_mov_b32 s6, exec_lo
	v_mbcnt_lo_u32_b32 v2, s7, 0
	global_load_dwordx2 v[0:1], v3, s[2:3] offset:16
	v_cmpx_eq_u32_e32 0, v2
	s_cbranch_execz .LBB1_126
; %bb.125:
	s_bcnt1_i32_b32 s7, s7
	v_mov_b32_e32 v2, s7
	s_waitcnt vmcnt(0)
	global_atomic_add_x2 v[0:1], v[2:3], off offset:8
.LBB1_126:
	s_or_b32 exec_lo, exec_lo, s6
	s_waitcnt vmcnt(0)
	global_load_dwordx2 v[2:3], v[0:1], off offset:16
	s_waitcnt vmcnt(0)
	v_cmp_eq_u64_e32 vcc_lo, 0, v[2:3]
	s_cbranch_vccnz .LBB1_128
; %bb.127:
	global_load_dword v0, v[0:1], off offset:24
	v_mov_b32_e32 v1, 0
	s_waitcnt vmcnt(0)
	v_readfirstlane_b32 s6, v0
	s_waitcnt_vscnt null, 0x0
	global_store_dwordx2 v[2:3], v[0:1], off
	s_and_b32 m0, s6, 0x7fffff
	s_sendmsg sendmsg(MSG_INTERRUPT)
.LBB1_128:
	s_or_b32 exec_lo, exec_lo, s1
	s_branch .LBB1_132
	.p2align	6
.LBB1_129:                              ;   in Loop: Header=BB1_132 Depth=1
	s_or_b32 exec_lo, exec_lo, s1
	v_readfirstlane_b32 s1, v0
	s_cmp_eq_u32 s1, 0
	s_cbranch_scc1 .LBB1_131
; %bb.130:                              ;   in Loop: Header=BB1_132 Depth=1
	s_sleep 1
	s_cbranch_execnz .LBB1_132
	s_branch .LBB1_134
	.p2align	6
.LBB1_131:
	s_branch .LBB1_134
.LBB1_132:                              ; =>This Inner Loop Header: Depth=1
	v_mov_b32_e32 v0, 1
	s_and_saveexec_b32 s1, s0
	s_cbranch_execz .LBB1_129
; %bb.133:                              ;   in Loop: Header=BB1_132 Depth=1
	global_load_dword v0, v[8:9], off offset:20 glc dlc
	s_waitcnt vmcnt(0)
	buffer_gl1_inv
	buffer_gl0_inv
	v_and_b32_e32 v0, 1, v0
	s_branch .LBB1_129
.LBB1_134:
	global_load_dwordx2 v[2:3], v[6:7], off
	s_and_saveexec_b32 s6, s0
	s_cbranch_execz .LBB1_138
; %bb.135:
	v_mov_b32_e32 v8, 0
	s_clause 0x2
	global_load_dwordx2 v[0:1], v8, s[2:3] offset:40
	global_load_dwordx2 v[11:12], v8, s[2:3] offset:24 glc dlc
	global_load_dwordx2 v[4:5], v8, s[2:3]
	s_waitcnt vmcnt(2)
	v_readfirstlane_b32 s8, v0
	v_readfirstlane_b32 s9, v1
	s_add_u32 s7, s8, 1
	s_addc_u32 s10, s9, 0
	s_add_u32 s0, s7, s4
	s_addc_u32 s1, s10, s5
	s_cmp_eq_u64 s[0:1], 0
	s_cselect_b32 s1, s10, s1
	s_cselect_b32 s0, s7, s0
	v_mov_b32_e32 v10, s1
	s_and_b64 s[4:5], s[0:1], s[8:9]
	v_mov_b32_e32 v9, s0
	s_mul_i32 s5, s5, 24
	s_mul_hi_u32 s7, s4, 24
	s_mul_i32 s4, s4, 24
	s_add_i32 s7, s7, s5
	s_waitcnt vmcnt(0)
	v_add_co_u32 v0, vcc_lo, v4, s4
	v_add_co_ci_u32_e64 v1, null, s7, v5, vcc_lo
	global_store_dwordx2 v[0:1], v[11:12], off
	s_waitcnt_vscnt null, 0x0
	global_atomic_cmpswap_x2 v[6:7], v8, v[9:12], s[2:3] offset:24 glc
	s_waitcnt vmcnt(0)
	v_cmp_ne_u64_e32 vcc_lo, v[6:7], v[11:12]
	s_and_b32 exec_lo, exec_lo, vcc_lo
	s_cbranch_execz .LBB1_138
; %bb.136:
	s_mov_b32 s4, 0
.LBB1_137:                              ; =>This Inner Loop Header: Depth=1
	v_mov_b32_e32 v4, s0
	v_mov_b32_e32 v5, s1
	s_sleep 1
	global_store_dwordx2 v[0:1], v[6:7], off
	s_waitcnt_vscnt null, 0x0
	global_atomic_cmpswap_x2 v[4:5], v8, v[4:7], s[2:3] offset:24 glc
	s_waitcnt vmcnt(0)
	v_cmp_eq_u64_e32 vcc_lo, v[4:5], v[6:7]
	v_mov_b32_e32 v7, v5
	v_mov_b32_e32 v6, v4
	s_or_b32 s4, vcc_lo, s4
	s_andn2_b32 exec_lo, exec_lo, s4
	s_cbranch_execnz .LBB1_137
.LBB1_138:
	s_or_b32 exec_lo, exec_lo, s6
.LBB1_139:
	v_readfirstlane_b32 s0, v31
	s_waitcnt vmcnt(0)
	v_mov_b32_e32 v0, 0
	v_mov_b32_e32 v1, 0
	v_cmp_eq_u32_e64 s0, s0, v31
	s_and_saveexec_b32 s1, s0
	s_cbranch_execz .LBB1_145
; %bb.140:
	v_mov_b32_e32 v4, 0
	s_mov_b32 s4, exec_lo
	global_load_dwordx2 v[7:8], v4, s[2:3] offset:24 glc dlc
	s_waitcnt vmcnt(0)
	buffer_gl1_inv
	buffer_gl0_inv
	s_clause 0x1
	global_load_dwordx2 v[0:1], v4, s[2:3] offset:40
	global_load_dwordx2 v[5:6], v4, s[2:3]
	s_waitcnt vmcnt(1)
	v_and_b32_e32 v1, v1, v8
	v_and_b32_e32 v0, v0, v7
	v_mul_lo_u32 v1, v1, 24
	v_mul_hi_u32 v9, v0, 24
	v_mul_lo_u32 v0, v0, 24
	v_add_nc_u32_e32 v1, v9, v1
	s_waitcnt vmcnt(0)
	v_add_co_u32 v0, vcc_lo, v5, v0
	v_add_co_ci_u32_e64 v1, null, v6, v1, vcc_lo
	global_load_dwordx2 v[5:6], v[0:1], off glc dlc
	s_waitcnt vmcnt(0)
	global_atomic_cmpswap_x2 v[0:1], v4, v[5:8], s[2:3] offset:24 glc
	s_waitcnt vmcnt(0)
	buffer_gl1_inv
	buffer_gl0_inv
	v_cmpx_ne_u64_e64 v[0:1], v[7:8]
	s_cbranch_execz .LBB1_144
; %bb.141:
	s_mov_b32 s5, 0
	.p2align	6
.LBB1_142:                              ; =>This Inner Loop Header: Depth=1
	s_sleep 1
	s_clause 0x1
	global_load_dwordx2 v[5:6], v4, s[2:3] offset:40
	global_load_dwordx2 v[9:10], v4, s[2:3]
	v_mov_b32_e32 v8, v1
	v_mov_b32_e32 v7, v0
	s_waitcnt vmcnt(1)
	v_and_b32_e32 v0, v5, v7
	v_and_b32_e32 v5, v6, v8
	s_waitcnt vmcnt(0)
	v_mad_u64_u32 v[0:1], null, v0, 24, v[9:10]
	v_mad_u64_u32 v[5:6], null, v5, 24, v[1:2]
	v_mov_b32_e32 v1, v5
	global_load_dwordx2 v[5:6], v[0:1], off glc dlc
	s_waitcnt vmcnt(0)
	global_atomic_cmpswap_x2 v[0:1], v4, v[5:8], s[2:3] offset:24 glc
	s_waitcnt vmcnt(0)
	buffer_gl1_inv
	buffer_gl0_inv
	v_cmp_eq_u64_e32 vcc_lo, v[0:1], v[7:8]
	s_or_b32 s5, vcc_lo, s5
	s_andn2_b32 exec_lo, exec_lo, s5
	s_cbranch_execnz .LBB1_142
; %bb.143:
	s_or_b32 exec_lo, exec_lo, s5
.LBB1_144:
	s_or_b32 exec_lo, exec_lo, s4
.LBB1_145:
	s_or_b32 exec_lo, exec_lo, s1
	v_mov_b32_e32 v5, 0
	v_readfirstlane_b32 s5, v1
	v_readfirstlane_b32 s4, v0
	s_mov_b32 s1, exec_lo
	s_clause 0x1
	global_load_dwordx2 v[10:11], v5, s[2:3] offset:40
	global_load_dwordx4 v[6:9], v5, s[2:3]
	s_waitcnt vmcnt(1)
	v_readfirstlane_b32 s6, v10
	v_readfirstlane_b32 s7, v11
	s_and_b64 s[6:7], s[6:7], s[4:5]
	s_mul_i32 s8, s7, 24
	s_mul_hi_u32 s9, s6, 24
	s_mul_i32 s10, s6, 24
	s_add_i32 s9, s9, s8
	s_waitcnt vmcnt(0)
	v_add_co_u32 v10, vcc_lo, v6, s10
	v_add_co_ci_u32_e64 v11, null, s9, v7, vcc_lo
	s_and_saveexec_b32 s8, s0
	s_cbranch_execz .LBB1_147
; %bb.146:
	v_mov_b32_e32 v4, s1
	v_mov_b32_e32 v13, v5
	;; [unrolled: 1-line block ×5, first 2 shown]
	global_store_dwordx4 v[10:11], v[12:15], off offset:8
.LBB1_147:
	s_or_b32 exec_lo, exec_lo, s8
	s_lshl_b64 s[6:7], s[6:7], 12
	s_mov_b32 s8, 0
	v_add_co_u32 v0, vcc_lo, v8, s6
	v_add_co_ci_u32_e64 v1, null, s7, v9, vcc_lo
	s_mov_b32 s11, s8
	v_add_co_u32 v8, vcc_lo, v0, v30
	s_mov_b32 s9, s8
	s_mov_b32 s10, s8
	v_and_or_b32 v2, 0xffffff1f, v2, 32
	v_mov_b32_e32 v4, v26
	v_readfirstlane_b32 s6, v0
	v_readfirstlane_b32 s7, v1
	v_mov_b32_e32 v15, s11
	v_add_co_ci_u32_e64 v9, null, 0, v1, vcc_lo
	v_mov_b32_e32 v14, s10
	v_mov_b32_e32 v13, s9
	;; [unrolled: 1-line block ×3, first 2 shown]
	global_store_dwordx4 v30, v[2:5], s[6:7]
	global_store_dwordx4 v30, v[12:15], s[6:7] offset:16
	global_store_dwordx4 v30, v[12:15], s[6:7] offset:32
	;; [unrolled: 1-line block ×3, first 2 shown]
	s_and_saveexec_b32 s1, s0
	s_cbranch_execz .LBB1_155
; %bb.148:
	v_mov_b32_e32 v12, 0
	v_mov_b32_e32 v13, s4
	;; [unrolled: 1-line block ×3, first 2 shown]
	s_clause 0x1
	global_load_dwordx2 v[15:16], v12, s[2:3] offset:32 glc dlc
	global_load_dwordx2 v[0:1], v12, s[2:3] offset:40
	s_waitcnt vmcnt(0)
	v_readfirstlane_b32 s6, v0
	v_readfirstlane_b32 s7, v1
	s_and_b64 s[6:7], s[6:7], s[4:5]
	s_mul_i32 s7, s7, 24
	s_mul_hi_u32 s8, s6, 24
	s_mul_i32 s6, s6, 24
	s_add_i32 s8, s8, s7
	v_add_co_u32 v4, vcc_lo, v6, s6
	v_add_co_ci_u32_e64 v5, null, s8, v7, vcc_lo
	s_mov_b32 s6, exec_lo
	global_store_dwordx2 v[4:5], v[15:16], off
	s_waitcnt_vscnt null, 0x0
	global_atomic_cmpswap_x2 v[2:3], v12, v[13:16], s[2:3] offset:32 glc
	s_waitcnt vmcnt(0)
	v_cmpx_ne_u64_e64 v[2:3], v[15:16]
	s_cbranch_execz .LBB1_151
; %bb.149:
	s_mov_b32 s7, 0
.LBB1_150:                              ; =>This Inner Loop Header: Depth=1
	v_mov_b32_e32 v0, s4
	v_mov_b32_e32 v1, s5
	s_sleep 1
	global_store_dwordx2 v[4:5], v[2:3], off
	s_waitcnt_vscnt null, 0x0
	global_atomic_cmpswap_x2 v[0:1], v12, v[0:3], s[2:3] offset:32 glc
	s_waitcnt vmcnt(0)
	v_cmp_eq_u64_e32 vcc_lo, v[0:1], v[2:3]
	v_mov_b32_e32 v3, v1
	v_mov_b32_e32 v2, v0
	s_or_b32 s7, vcc_lo, s7
	s_andn2_b32 exec_lo, exec_lo, s7
	s_cbranch_execnz .LBB1_150
.LBB1_151:
	s_or_b32 exec_lo, exec_lo, s6
	v_mov_b32_e32 v3, 0
	s_mov_b32 s7, exec_lo
	s_mov_b32 s6, exec_lo
	v_mbcnt_lo_u32_b32 v2, s7, 0
	global_load_dwordx2 v[0:1], v3, s[2:3] offset:16
	v_cmpx_eq_u32_e32 0, v2
	s_cbranch_execz .LBB1_153
; %bb.152:
	s_bcnt1_i32_b32 s7, s7
	v_mov_b32_e32 v2, s7
	s_waitcnt vmcnt(0)
	global_atomic_add_x2 v[0:1], v[2:3], off offset:8
.LBB1_153:
	s_or_b32 exec_lo, exec_lo, s6
	s_waitcnt vmcnt(0)
	global_load_dwordx2 v[2:3], v[0:1], off offset:16
	s_waitcnt vmcnt(0)
	v_cmp_eq_u64_e32 vcc_lo, 0, v[2:3]
	s_cbranch_vccnz .LBB1_155
; %bb.154:
	global_load_dword v0, v[0:1], off offset:24
	v_mov_b32_e32 v1, 0
	s_waitcnt vmcnt(0)
	v_readfirstlane_b32 s6, v0
	s_waitcnt_vscnt null, 0x0
	global_store_dwordx2 v[2:3], v[0:1], off
	s_and_b32 m0, s6, 0x7fffff
	s_sendmsg sendmsg(MSG_INTERRUPT)
.LBB1_155:
	s_or_b32 exec_lo, exec_lo, s1
	s_branch .LBB1_159
	.p2align	6
.LBB1_156:                              ;   in Loop: Header=BB1_159 Depth=1
	s_or_b32 exec_lo, exec_lo, s1
	v_readfirstlane_b32 s1, v0
	s_cmp_eq_u32 s1, 0
	s_cbranch_scc1 .LBB1_158
; %bb.157:                              ;   in Loop: Header=BB1_159 Depth=1
	s_sleep 1
	s_cbranch_execnz .LBB1_159
	s_branch .LBB1_161
	.p2align	6
.LBB1_158:
	s_branch .LBB1_161
.LBB1_159:                              ; =>This Inner Loop Header: Depth=1
	v_mov_b32_e32 v0, 1
	s_and_saveexec_b32 s1, s0
	s_cbranch_execz .LBB1_156
; %bb.160:                              ;   in Loop: Header=BB1_159 Depth=1
	global_load_dword v0, v[10:11], off offset:20 glc dlc
	s_waitcnt vmcnt(0)
	buffer_gl1_inv
	buffer_gl0_inv
	v_and_b32_e32 v0, 1, v0
	s_branch .LBB1_156
.LBB1_161:
	global_load_dwordx2 v[0:1], v[8:9], off
	s_and_saveexec_b32 s6, s0
	s_cbranch_execz .LBB1_165
; %bb.162:
	v_mov_b32_e32 v8, 0
	s_clause 0x2
	global_load_dwordx2 v[2:3], v8, s[2:3] offset:40
	global_load_dwordx2 v[11:12], v8, s[2:3] offset:24 glc dlc
	global_load_dwordx2 v[4:5], v8, s[2:3]
	s_waitcnt vmcnt(2)
	v_readfirstlane_b32 s8, v2
	v_readfirstlane_b32 s9, v3
	s_add_u32 s7, s8, 1
	s_addc_u32 s10, s9, 0
	s_add_u32 s0, s7, s4
	s_addc_u32 s1, s10, s5
	s_cmp_eq_u64 s[0:1], 0
	s_cselect_b32 s1, s10, s1
	s_cselect_b32 s0, s7, s0
	v_mov_b32_e32 v10, s1
	s_and_b64 s[4:5], s[0:1], s[8:9]
	v_mov_b32_e32 v9, s0
	s_mul_i32 s5, s5, 24
	s_mul_hi_u32 s7, s4, 24
	s_mul_i32 s4, s4, 24
	s_add_i32 s7, s7, s5
	s_waitcnt vmcnt(0)
	v_add_co_u32 v6, vcc_lo, v4, s4
	v_add_co_ci_u32_e64 v7, null, s7, v5, vcc_lo
	global_store_dwordx2 v[6:7], v[11:12], off
	s_waitcnt_vscnt null, 0x0
	global_atomic_cmpswap_x2 v[4:5], v8, v[9:12], s[2:3] offset:24 glc
	s_waitcnt vmcnt(0)
	v_cmp_ne_u64_e32 vcc_lo, v[4:5], v[11:12]
	s_and_b32 exec_lo, exec_lo, vcc_lo
	s_cbranch_execz .LBB1_165
; %bb.163:
	s_mov_b32 s4, 0
.LBB1_164:                              ; =>This Inner Loop Header: Depth=1
	v_mov_b32_e32 v2, s0
	v_mov_b32_e32 v3, s1
	s_sleep 1
	global_store_dwordx2 v[6:7], v[4:5], off
	s_waitcnt_vscnt null, 0x0
	global_atomic_cmpswap_x2 v[2:3], v8, v[2:5], s[2:3] offset:24 glc
	s_waitcnt vmcnt(0)
	v_cmp_eq_u64_e32 vcc_lo, v[2:3], v[4:5]
	v_mov_b32_e32 v5, v3
	v_mov_b32_e32 v4, v2
	s_or_b32 s4, vcc_lo, s4
	s_andn2_b32 exec_lo, exec_lo, s4
	s_cbranch_execnz .LBB1_164
.LBB1_165:
	s_or_b32 exec_lo, exec_lo, s6
	v_readfirstlane_b32 s0, v31
	v_mov_b32_e32 v2, 0
	v_mov_b32_e32 v3, 0
	v_cmp_eq_u32_e64 s0, s0, v31
	s_and_saveexec_b32 s1, s0
	s_cbranch_execz .LBB1_171
; %bb.166:
	v_mov_b32_e32 v4, 0
	s_mov_b32 s4, exec_lo
	global_load_dwordx2 v[7:8], v4, s[2:3] offset:24 glc dlc
	s_waitcnt vmcnt(0)
	buffer_gl1_inv
	buffer_gl0_inv
	s_clause 0x1
	global_load_dwordx2 v[2:3], v4, s[2:3] offset:40
	global_load_dwordx2 v[5:6], v4, s[2:3]
	s_waitcnt vmcnt(1)
	v_and_b32_e32 v3, v3, v8
	v_and_b32_e32 v2, v2, v7
	v_mul_lo_u32 v3, v3, 24
	v_mul_hi_u32 v9, v2, 24
	v_mul_lo_u32 v2, v2, 24
	v_add_nc_u32_e32 v3, v9, v3
	s_waitcnt vmcnt(0)
	v_add_co_u32 v2, vcc_lo, v5, v2
	v_add_co_ci_u32_e64 v3, null, v6, v3, vcc_lo
	global_load_dwordx2 v[5:6], v[2:3], off glc dlc
	s_waitcnt vmcnt(0)
	global_atomic_cmpswap_x2 v[2:3], v4, v[5:8], s[2:3] offset:24 glc
	s_waitcnt vmcnt(0)
	buffer_gl1_inv
	buffer_gl0_inv
	v_cmpx_ne_u64_e64 v[2:3], v[7:8]
	s_cbranch_execz .LBB1_170
; %bb.167:
	s_mov_b32 s5, 0
	.p2align	6
.LBB1_168:                              ; =>This Inner Loop Header: Depth=1
	s_sleep 1
	s_clause 0x1
	global_load_dwordx2 v[5:6], v4, s[2:3] offset:40
	global_load_dwordx2 v[9:10], v4, s[2:3]
	v_mov_b32_e32 v8, v3
	v_mov_b32_e32 v7, v2
	s_waitcnt vmcnt(1)
	v_and_b32_e32 v2, v5, v7
	v_and_b32_e32 v5, v6, v8
	s_waitcnt vmcnt(0)
	v_mad_u64_u32 v[2:3], null, v2, 24, v[9:10]
	v_mad_u64_u32 v[5:6], null, v5, 24, v[3:4]
	v_mov_b32_e32 v3, v5
	global_load_dwordx2 v[5:6], v[2:3], off glc dlc
	s_waitcnt vmcnt(0)
	global_atomic_cmpswap_x2 v[2:3], v4, v[5:8], s[2:3] offset:24 glc
	s_waitcnt vmcnt(0)
	buffer_gl1_inv
	buffer_gl0_inv
	v_cmp_eq_u64_e32 vcc_lo, v[2:3], v[7:8]
	s_or_b32 s5, vcc_lo, s5
	s_andn2_b32 exec_lo, exec_lo, s5
	s_cbranch_execnz .LBB1_168
; %bb.169:
	s_or_b32 exec_lo, exec_lo, s5
.LBB1_170:
	s_or_b32 exec_lo, exec_lo, s4
.LBB1_171:
	s_or_b32 exec_lo, exec_lo, s1
	v_mov_b32_e32 v9, 0
	v_readfirstlane_b32 s5, v3
	v_readfirstlane_b32 s4, v2
	s_mov_b32 s1, exec_lo
	s_clause 0x1
	global_load_dwordx2 v[10:11], v9, s[2:3] offset:40
	global_load_dwordx4 v[4:7], v9, s[2:3]
	s_waitcnt vmcnt(1)
	v_readfirstlane_b32 s6, v10
	v_readfirstlane_b32 s7, v11
	s_and_b64 s[6:7], s[6:7], s[4:5]
	s_mul_i32 s8, s7, 24
	s_mul_hi_u32 s9, s6, 24
	s_mul_i32 s10, s6, 24
	s_add_i32 s9, s9, s8
	s_waitcnt vmcnt(0)
	v_add_co_u32 v12, vcc_lo, v4, s10
	v_add_co_ci_u32_e64 v13, null, s9, v5, vcc_lo
	s_and_saveexec_b32 s8, s0
	s_cbranch_execz .LBB1_173
; %bb.172:
	v_mov_b32_e32 v8, s1
	v_mov_b32_e32 v10, 2
	;; [unrolled: 1-line block ×3, first 2 shown]
	global_store_dwordx4 v[12:13], v[8:11], off offset:8
.LBB1_173:
	s_or_b32 exec_lo, exec_lo, s8
	v_cvt_f64_f32_e32 v[2:3], v33
	s_lshl_b64 s[6:7], s[6:7], 12
	s_mov_b32 s8, 0
	v_add_co_u32 v6, vcc_lo, v6, s6
	v_add_co_ci_u32_e64 v7, null, s7, v7, vcc_lo
	s_mov_b32 s9, s8
	s_mov_b32 s10, s8
	;; [unrolled: 1-line block ×3, first 2 shown]
	v_readfirstlane_b32 s6, v6
	v_add_co_u32 v6, vcc_lo, v6, v30
	v_mov_b32_e32 v8, s8
	v_mov_b32_e32 v9, s9
	;; [unrolled: 1-line block ×4, first 2 shown]
	v_readfirstlane_b32 s7, v7
	v_add_co_ci_u32_e64 v7, null, 0, v7, vcc_lo
	v_and_or_b32 v0, 0xffffff1f, v0, 32
	global_store_dwordx4 v30, v[8:11], s[6:7] offset:16
	global_store_dwordx4 v30, v[8:11], s[6:7] offset:32
	global_store_dwordx4 v30, v[0:3], s[6:7]
	global_store_dwordx4 v30, v[8:11], s[6:7] offset:48
	s_and_saveexec_b32 s1, s0
	s_cbranch_execz .LBB1_181
; %bb.174:
	v_mov_b32_e32 v8, 0
	v_mov_b32_e32 v14, s4
	;; [unrolled: 1-line block ×3, first 2 shown]
	s_clause 0x1
	global_load_dwordx2 v[16:17], v8, s[2:3] offset:32 glc dlc
	global_load_dwordx2 v[0:1], v8, s[2:3] offset:40
	s_waitcnt vmcnt(0)
	v_readfirstlane_b32 s6, v0
	v_readfirstlane_b32 s7, v1
	s_and_b64 s[6:7], s[6:7], s[4:5]
	s_mul_i32 s7, s7, 24
	s_mul_hi_u32 s8, s6, 24
	s_mul_i32 s6, s6, 24
	s_add_i32 s8, s8, s7
	v_add_co_u32 v4, vcc_lo, v4, s6
	v_add_co_ci_u32_e64 v5, null, s8, v5, vcc_lo
	s_mov_b32 s6, exec_lo
	global_store_dwordx2 v[4:5], v[16:17], off
	s_waitcnt_vscnt null, 0x0
	global_atomic_cmpswap_x2 v[2:3], v8, v[14:17], s[2:3] offset:32 glc
	s_waitcnt vmcnt(0)
	v_cmpx_ne_u64_e64 v[2:3], v[16:17]
	s_cbranch_execz .LBB1_177
; %bb.175:
	s_mov_b32 s7, 0
.LBB1_176:                              ; =>This Inner Loop Header: Depth=1
	v_mov_b32_e32 v0, s4
	v_mov_b32_e32 v1, s5
	s_sleep 1
	global_store_dwordx2 v[4:5], v[2:3], off
	s_waitcnt_vscnt null, 0x0
	global_atomic_cmpswap_x2 v[0:1], v8, v[0:3], s[2:3] offset:32 glc
	s_waitcnt vmcnt(0)
	v_cmp_eq_u64_e32 vcc_lo, v[0:1], v[2:3]
	v_mov_b32_e32 v3, v1
	v_mov_b32_e32 v2, v0
	s_or_b32 s7, vcc_lo, s7
	s_andn2_b32 exec_lo, exec_lo, s7
	s_cbranch_execnz .LBB1_176
.LBB1_177:
	s_or_b32 exec_lo, exec_lo, s6
	v_mov_b32_e32 v3, 0
	s_mov_b32 s7, exec_lo
	s_mov_b32 s6, exec_lo
	v_mbcnt_lo_u32_b32 v2, s7, 0
	global_load_dwordx2 v[0:1], v3, s[2:3] offset:16
	v_cmpx_eq_u32_e32 0, v2
	s_cbranch_execz .LBB1_179
; %bb.178:
	s_bcnt1_i32_b32 s7, s7
	v_mov_b32_e32 v2, s7
	s_waitcnt vmcnt(0)
	global_atomic_add_x2 v[0:1], v[2:3], off offset:8
.LBB1_179:
	s_or_b32 exec_lo, exec_lo, s6
	s_waitcnt vmcnt(0)
	global_load_dwordx2 v[2:3], v[0:1], off offset:16
	s_waitcnt vmcnt(0)
	v_cmp_eq_u64_e32 vcc_lo, 0, v[2:3]
	s_cbranch_vccnz .LBB1_181
; %bb.180:
	global_load_dword v0, v[0:1], off offset:24
	v_mov_b32_e32 v1, 0
	s_waitcnt vmcnt(0)
	v_readfirstlane_b32 s6, v0
	s_waitcnt_vscnt null, 0x0
	global_store_dwordx2 v[2:3], v[0:1], off
	s_and_b32 m0, s6, 0x7fffff
	s_sendmsg sendmsg(MSG_INTERRUPT)
.LBB1_181:
	s_or_b32 exec_lo, exec_lo, s1
	s_branch .LBB1_185
	.p2align	6
.LBB1_182:                              ;   in Loop: Header=BB1_185 Depth=1
	s_or_b32 exec_lo, exec_lo, s1
	v_readfirstlane_b32 s1, v0
	s_cmp_eq_u32 s1, 0
	s_cbranch_scc1 .LBB1_184
; %bb.183:                              ;   in Loop: Header=BB1_185 Depth=1
	s_sleep 1
	s_cbranch_execnz .LBB1_185
	s_branch .LBB1_187
	.p2align	6
.LBB1_184:
	s_branch .LBB1_187
.LBB1_185:                              ; =>This Inner Loop Header: Depth=1
	v_mov_b32_e32 v0, 1
	s_and_saveexec_b32 s1, s0
	s_cbranch_execz .LBB1_182
; %bb.186:                              ;   in Loop: Header=BB1_185 Depth=1
	global_load_dword v0, v[12:13], off offset:20 glc dlc
	s_waitcnt vmcnt(0)
	buffer_gl1_inv
	buffer_gl0_inv
	v_and_b32_e32 v0, 1, v0
	s_branch .LBB1_182
.LBB1_187:
	global_load_dwordx2 v[0:1], v[6:7], off
	s_and_saveexec_b32 s6, s0
	s_cbranch_execz .LBB1_191
; %bb.188:
	v_mov_b32_e32 v8, 0
	s_clause 0x2
	global_load_dwordx2 v[2:3], v8, s[2:3] offset:40
	global_load_dwordx2 v[11:12], v8, s[2:3] offset:24 glc dlc
	global_load_dwordx2 v[4:5], v8, s[2:3]
	s_waitcnt vmcnt(2)
	v_readfirstlane_b32 s8, v2
	v_readfirstlane_b32 s9, v3
	s_add_u32 s7, s8, 1
	s_addc_u32 s10, s9, 0
	s_add_u32 s0, s7, s4
	s_addc_u32 s1, s10, s5
	s_cmp_eq_u64 s[0:1], 0
	s_cselect_b32 s1, s10, s1
	s_cselect_b32 s0, s7, s0
	v_mov_b32_e32 v10, s1
	s_and_b64 s[4:5], s[0:1], s[8:9]
	v_mov_b32_e32 v9, s0
	s_mul_i32 s5, s5, 24
	s_mul_hi_u32 s7, s4, 24
	s_mul_i32 s4, s4, 24
	s_add_i32 s7, s7, s5
	s_waitcnt vmcnt(0)
	v_add_co_u32 v6, vcc_lo, v4, s4
	v_add_co_ci_u32_e64 v7, null, s7, v5, vcc_lo
	global_store_dwordx2 v[6:7], v[11:12], off
	s_waitcnt_vscnt null, 0x0
	global_atomic_cmpswap_x2 v[4:5], v8, v[9:12], s[2:3] offset:24 glc
	s_waitcnt vmcnt(0)
	v_cmp_ne_u64_e32 vcc_lo, v[4:5], v[11:12]
	s_and_b32 exec_lo, exec_lo, vcc_lo
	s_cbranch_execz .LBB1_191
; %bb.189:
	s_mov_b32 s4, 0
.LBB1_190:                              ; =>This Inner Loop Header: Depth=1
	v_mov_b32_e32 v2, s0
	v_mov_b32_e32 v3, s1
	s_sleep 1
	global_store_dwordx2 v[6:7], v[4:5], off
	s_waitcnt_vscnt null, 0x0
	global_atomic_cmpswap_x2 v[2:3], v8, v[2:5], s[2:3] offset:24 glc
	s_waitcnt vmcnt(0)
	v_cmp_eq_u64_e32 vcc_lo, v[2:3], v[4:5]
	v_mov_b32_e32 v5, v3
	v_mov_b32_e32 v4, v2
	s_or_b32 s4, vcc_lo, s4
	s_andn2_b32 exec_lo, exec_lo, s4
	s_cbranch_execnz .LBB1_190
.LBB1_191:
	s_or_b32 exec_lo, exec_lo, s6
	v_readfirstlane_b32 s0, v31
	v_mov_b32_e32 v2, 0
	v_mov_b32_e32 v3, 0
	v_cmp_eq_u32_e64 s0, s0, v31
	s_and_saveexec_b32 s1, s0
	s_cbranch_execz .LBB1_197
; %bb.192:
	v_mov_b32_e32 v4, 0
	s_mov_b32 s4, exec_lo
	global_load_dwordx2 v[7:8], v4, s[2:3] offset:24 glc dlc
	s_waitcnt vmcnt(0)
	buffer_gl1_inv
	buffer_gl0_inv
	s_clause 0x1
	global_load_dwordx2 v[2:3], v4, s[2:3] offset:40
	global_load_dwordx2 v[5:6], v4, s[2:3]
	s_waitcnt vmcnt(1)
	v_and_b32_e32 v3, v3, v8
	v_and_b32_e32 v2, v2, v7
	v_mul_lo_u32 v3, v3, 24
	v_mul_hi_u32 v9, v2, 24
	v_mul_lo_u32 v2, v2, 24
	v_add_nc_u32_e32 v3, v9, v3
	s_waitcnt vmcnt(0)
	v_add_co_u32 v2, vcc_lo, v5, v2
	v_add_co_ci_u32_e64 v3, null, v6, v3, vcc_lo
	global_load_dwordx2 v[5:6], v[2:3], off glc dlc
	s_waitcnt vmcnt(0)
	global_atomic_cmpswap_x2 v[2:3], v4, v[5:8], s[2:3] offset:24 glc
	s_waitcnt vmcnt(0)
	buffer_gl1_inv
	buffer_gl0_inv
	v_cmpx_ne_u64_e64 v[2:3], v[7:8]
	s_cbranch_execz .LBB1_196
; %bb.193:
	s_mov_b32 s5, 0
	.p2align	6
.LBB1_194:                              ; =>This Inner Loop Header: Depth=1
	s_sleep 1
	s_clause 0x1
	global_load_dwordx2 v[5:6], v4, s[2:3] offset:40
	global_load_dwordx2 v[9:10], v4, s[2:3]
	v_mov_b32_e32 v8, v3
	v_mov_b32_e32 v7, v2
	s_waitcnt vmcnt(1)
	v_and_b32_e32 v2, v5, v7
	v_and_b32_e32 v5, v6, v8
	s_waitcnt vmcnt(0)
	v_mad_u64_u32 v[2:3], null, v2, 24, v[9:10]
	v_mad_u64_u32 v[5:6], null, v5, 24, v[3:4]
	v_mov_b32_e32 v3, v5
	global_load_dwordx2 v[5:6], v[2:3], off glc dlc
	s_waitcnt vmcnt(0)
	global_atomic_cmpswap_x2 v[2:3], v4, v[5:8], s[2:3] offset:24 glc
	s_waitcnt vmcnt(0)
	buffer_gl1_inv
	buffer_gl0_inv
	v_cmp_eq_u64_e32 vcc_lo, v[2:3], v[7:8]
	s_or_b32 s5, vcc_lo, s5
	s_andn2_b32 exec_lo, exec_lo, s5
	s_cbranch_execnz .LBB1_194
; %bb.195:
	s_or_b32 exec_lo, exec_lo, s5
.LBB1_196:
	s_or_b32 exec_lo, exec_lo, s4
.LBB1_197:
	s_or_b32 exec_lo, exec_lo, s1
	v_mov_b32_e32 v9, 0
	v_readfirstlane_b32 s5, v3
	v_readfirstlane_b32 s4, v2
	s_mov_b32 s1, exec_lo
	s_clause 0x1
	global_load_dwordx2 v[10:11], v9, s[2:3] offset:40
	global_load_dwordx4 v[4:7], v9, s[2:3]
	s_waitcnt vmcnt(1)
	v_readfirstlane_b32 s6, v10
	v_readfirstlane_b32 s7, v11
	s_and_b64 s[6:7], s[6:7], s[4:5]
	s_mul_i32 s8, s7, 24
	s_mul_hi_u32 s9, s6, 24
	s_mul_i32 s10, s6, 24
	s_add_i32 s9, s9, s8
	s_waitcnt vmcnt(0)
	v_add_co_u32 v12, vcc_lo, v4, s10
	v_add_co_ci_u32_e64 v13, null, s9, v5, vcc_lo
	s_and_saveexec_b32 s8, s0
	s_cbranch_execz .LBB1_199
; %bb.198:
	v_mov_b32_e32 v8, s1
	v_mov_b32_e32 v10, 2
	;; [unrolled: 1-line block ×3, first 2 shown]
	global_store_dwordx4 v[12:13], v[8:11], off offset:8
.LBB1_199:
	s_or_b32 exec_lo, exec_lo, s8
	v_cvt_f64_f32_e32 v[2:3], v32
	s_lshl_b64 s[6:7], s[6:7], 12
	s_mov_b32 s8, 0
	v_add_co_u32 v6, vcc_lo, v6, s6
	v_add_co_ci_u32_e64 v7, null, s7, v7, vcc_lo
	s_mov_b32 s9, s8
	s_mov_b32 s10, s8
	s_mov_b32 s11, s8
	v_readfirstlane_b32 s6, v6
	v_add_co_u32 v6, vcc_lo, v6, v30
	v_mov_b32_e32 v8, s8
	v_mov_b32_e32 v9, s9
	;; [unrolled: 1-line block ×4, first 2 shown]
	v_readfirstlane_b32 s7, v7
	v_add_co_ci_u32_e64 v7, null, 0, v7, vcc_lo
	v_and_or_b32 v0, 0xffffff1f, v0, 32
	global_store_dwordx4 v30, v[8:11], s[6:7] offset:16
	global_store_dwordx4 v30, v[8:11], s[6:7] offset:32
	global_store_dwordx4 v30, v[0:3], s[6:7]
	global_store_dwordx4 v30, v[8:11], s[6:7] offset:48
	s_and_saveexec_b32 s1, s0
	s_cbranch_execz .LBB1_207
; %bb.200:
	v_mov_b32_e32 v8, 0
	v_mov_b32_e32 v14, s4
	;; [unrolled: 1-line block ×3, first 2 shown]
	s_clause 0x1
	global_load_dwordx2 v[16:17], v8, s[2:3] offset:32 glc dlc
	global_load_dwordx2 v[0:1], v8, s[2:3] offset:40
	s_waitcnt vmcnt(0)
	v_readfirstlane_b32 s6, v0
	v_readfirstlane_b32 s7, v1
	s_and_b64 s[6:7], s[6:7], s[4:5]
	s_mul_i32 s7, s7, 24
	s_mul_hi_u32 s8, s6, 24
	s_mul_i32 s6, s6, 24
	s_add_i32 s8, s8, s7
	v_add_co_u32 v4, vcc_lo, v4, s6
	v_add_co_ci_u32_e64 v5, null, s8, v5, vcc_lo
	s_mov_b32 s6, exec_lo
	global_store_dwordx2 v[4:5], v[16:17], off
	s_waitcnt_vscnt null, 0x0
	global_atomic_cmpswap_x2 v[2:3], v8, v[14:17], s[2:3] offset:32 glc
	s_waitcnt vmcnt(0)
	v_cmpx_ne_u64_e64 v[2:3], v[16:17]
	s_cbranch_execz .LBB1_203
; %bb.201:
	s_mov_b32 s7, 0
.LBB1_202:                              ; =>This Inner Loop Header: Depth=1
	v_mov_b32_e32 v0, s4
	v_mov_b32_e32 v1, s5
	s_sleep 1
	global_store_dwordx2 v[4:5], v[2:3], off
	s_waitcnt_vscnt null, 0x0
	global_atomic_cmpswap_x2 v[0:1], v8, v[0:3], s[2:3] offset:32 glc
	s_waitcnt vmcnt(0)
	v_cmp_eq_u64_e32 vcc_lo, v[0:1], v[2:3]
	v_mov_b32_e32 v3, v1
	v_mov_b32_e32 v2, v0
	s_or_b32 s7, vcc_lo, s7
	s_andn2_b32 exec_lo, exec_lo, s7
	s_cbranch_execnz .LBB1_202
.LBB1_203:
	s_or_b32 exec_lo, exec_lo, s6
	v_mov_b32_e32 v3, 0
	s_mov_b32 s7, exec_lo
	s_mov_b32 s6, exec_lo
	v_mbcnt_lo_u32_b32 v2, s7, 0
	global_load_dwordx2 v[0:1], v3, s[2:3] offset:16
	v_cmpx_eq_u32_e32 0, v2
	s_cbranch_execz .LBB1_205
; %bb.204:
	s_bcnt1_i32_b32 s7, s7
	v_mov_b32_e32 v2, s7
	s_waitcnt vmcnt(0)
	global_atomic_add_x2 v[0:1], v[2:3], off offset:8
.LBB1_205:
	s_or_b32 exec_lo, exec_lo, s6
	s_waitcnt vmcnt(0)
	global_load_dwordx2 v[2:3], v[0:1], off offset:16
	s_waitcnt vmcnt(0)
	v_cmp_eq_u64_e32 vcc_lo, 0, v[2:3]
	s_cbranch_vccnz .LBB1_207
; %bb.206:
	global_load_dword v0, v[0:1], off offset:24
	v_mov_b32_e32 v1, 0
	s_waitcnt vmcnt(0)
	v_readfirstlane_b32 s6, v0
	s_waitcnt_vscnt null, 0x0
	global_store_dwordx2 v[2:3], v[0:1], off
	s_and_b32 m0, s6, 0x7fffff
	s_sendmsg sendmsg(MSG_INTERRUPT)
.LBB1_207:
	s_or_b32 exec_lo, exec_lo, s1
	s_branch .LBB1_211
	.p2align	6
.LBB1_208:                              ;   in Loop: Header=BB1_211 Depth=1
	s_or_b32 exec_lo, exec_lo, s1
	v_readfirstlane_b32 s1, v0
	s_cmp_eq_u32 s1, 0
	s_cbranch_scc1 .LBB1_210
; %bb.209:                              ;   in Loop: Header=BB1_211 Depth=1
	s_sleep 1
	s_cbranch_execnz .LBB1_211
	s_branch .LBB1_213
	.p2align	6
.LBB1_210:
	s_branch .LBB1_213
.LBB1_211:                              ; =>This Inner Loop Header: Depth=1
	v_mov_b32_e32 v0, 1
	s_and_saveexec_b32 s1, s0
	s_cbranch_execz .LBB1_208
; %bb.212:                              ;   in Loop: Header=BB1_211 Depth=1
	global_load_dword v0, v[12:13], off offset:20 glc dlc
	s_waitcnt vmcnt(0)
	buffer_gl1_inv
	buffer_gl0_inv
	v_and_b32_e32 v0, 1, v0
	s_branch .LBB1_208
.LBB1_213:
	global_load_dwordx2 v[0:1], v[6:7], off
	s_and_saveexec_b32 s6, s0
	s_cbranch_execz .LBB1_217
; %bb.214:
	v_mov_b32_e32 v8, 0
	s_clause 0x2
	global_load_dwordx2 v[2:3], v8, s[2:3] offset:40
	global_load_dwordx2 v[11:12], v8, s[2:3] offset:24 glc dlc
	global_load_dwordx2 v[4:5], v8, s[2:3]
	s_waitcnt vmcnt(2)
	v_readfirstlane_b32 s8, v2
	v_readfirstlane_b32 s9, v3
	s_add_u32 s7, s8, 1
	s_addc_u32 s10, s9, 0
	s_add_u32 s0, s7, s4
	s_addc_u32 s1, s10, s5
	s_cmp_eq_u64 s[0:1], 0
	s_cselect_b32 s1, s10, s1
	s_cselect_b32 s0, s7, s0
	v_mov_b32_e32 v10, s1
	s_and_b64 s[4:5], s[0:1], s[8:9]
	v_mov_b32_e32 v9, s0
	s_mul_i32 s5, s5, 24
	s_mul_hi_u32 s7, s4, 24
	s_mul_i32 s4, s4, 24
	s_add_i32 s7, s7, s5
	s_waitcnt vmcnt(0)
	v_add_co_u32 v6, vcc_lo, v4, s4
	v_add_co_ci_u32_e64 v7, null, s7, v5, vcc_lo
	global_store_dwordx2 v[6:7], v[11:12], off
	s_waitcnt_vscnt null, 0x0
	global_atomic_cmpswap_x2 v[4:5], v8, v[9:12], s[2:3] offset:24 glc
	s_waitcnt vmcnt(0)
	v_cmp_ne_u64_e32 vcc_lo, v[4:5], v[11:12]
	s_and_b32 exec_lo, exec_lo, vcc_lo
	s_cbranch_execz .LBB1_217
; %bb.215:
	s_mov_b32 s4, 0
.LBB1_216:                              ; =>This Inner Loop Header: Depth=1
	v_mov_b32_e32 v2, s0
	v_mov_b32_e32 v3, s1
	s_sleep 1
	global_store_dwordx2 v[6:7], v[4:5], off
	s_waitcnt_vscnt null, 0x0
	global_atomic_cmpswap_x2 v[2:3], v8, v[2:5], s[2:3] offset:24 glc
	s_waitcnt vmcnt(0)
	v_cmp_eq_u64_e32 vcc_lo, v[2:3], v[4:5]
	v_mov_b32_e32 v5, v3
	v_mov_b32_e32 v4, v2
	s_or_b32 s4, vcc_lo, s4
	s_andn2_b32 exec_lo, exec_lo, s4
	s_cbranch_execnz .LBB1_216
.LBB1_217:
	s_or_b32 exec_lo, exec_lo, s6
	v_readfirstlane_b32 s0, v31
	v_mov_b32_e32 v2, 0
	v_mov_b32_e32 v3, 0
	v_cmp_eq_u32_e64 s0, s0, v31
	s_and_saveexec_b32 s1, s0
	s_cbranch_execz .LBB1_223
; %bb.218:
	v_mov_b32_e32 v4, 0
	s_mov_b32 s4, exec_lo
	global_load_dwordx2 v[7:8], v4, s[2:3] offset:24 glc dlc
	s_waitcnt vmcnt(0)
	buffer_gl1_inv
	buffer_gl0_inv
	s_clause 0x1
	global_load_dwordx2 v[2:3], v4, s[2:3] offset:40
	global_load_dwordx2 v[5:6], v4, s[2:3]
	s_waitcnt vmcnt(1)
	v_and_b32_e32 v3, v3, v8
	v_and_b32_e32 v2, v2, v7
	v_mul_lo_u32 v3, v3, 24
	v_mul_hi_u32 v9, v2, 24
	v_mul_lo_u32 v2, v2, 24
	v_add_nc_u32_e32 v3, v9, v3
	s_waitcnt vmcnt(0)
	v_add_co_u32 v2, vcc_lo, v5, v2
	v_add_co_ci_u32_e64 v3, null, v6, v3, vcc_lo
	global_load_dwordx2 v[5:6], v[2:3], off glc dlc
	s_waitcnt vmcnt(0)
	global_atomic_cmpswap_x2 v[2:3], v4, v[5:8], s[2:3] offset:24 glc
	s_waitcnt vmcnt(0)
	buffer_gl1_inv
	buffer_gl0_inv
	v_cmpx_ne_u64_e64 v[2:3], v[7:8]
	s_cbranch_execz .LBB1_222
; %bb.219:
	s_mov_b32 s5, 0
	.p2align	6
.LBB1_220:                              ; =>This Inner Loop Header: Depth=1
	s_sleep 1
	s_clause 0x1
	global_load_dwordx2 v[5:6], v4, s[2:3] offset:40
	global_load_dwordx2 v[9:10], v4, s[2:3]
	v_mov_b32_e32 v8, v3
	v_mov_b32_e32 v7, v2
	s_waitcnt vmcnt(1)
	v_and_b32_e32 v2, v5, v7
	v_and_b32_e32 v5, v6, v8
	s_waitcnt vmcnt(0)
	v_mad_u64_u32 v[2:3], null, v2, 24, v[9:10]
	v_mad_u64_u32 v[5:6], null, v5, 24, v[3:4]
	v_mov_b32_e32 v3, v5
	global_load_dwordx2 v[5:6], v[2:3], off glc dlc
	s_waitcnt vmcnt(0)
	global_atomic_cmpswap_x2 v[2:3], v4, v[5:8], s[2:3] offset:24 glc
	s_waitcnt vmcnt(0)
	buffer_gl1_inv
	buffer_gl0_inv
	v_cmp_eq_u64_e32 vcc_lo, v[2:3], v[7:8]
	s_or_b32 s5, vcc_lo, s5
	s_andn2_b32 exec_lo, exec_lo, s5
	s_cbranch_execnz .LBB1_220
; %bb.221:
	s_or_b32 exec_lo, exec_lo, s5
.LBB1_222:
	s_or_b32 exec_lo, exec_lo, s4
.LBB1_223:
	s_or_b32 exec_lo, exec_lo, s1
	v_mov_b32_e32 v9, 0
	v_readfirstlane_b32 s5, v3
	v_readfirstlane_b32 s4, v2
	s_mov_b32 s1, exec_lo
	s_clause 0x1
	global_load_dwordx2 v[10:11], v9, s[2:3] offset:40
	global_load_dwordx4 v[4:7], v9, s[2:3]
	s_waitcnt vmcnt(1)
	v_readfirstlane_b32 s6, v10
	v_readfirstlane_b32 s7, v11
	s_and_b64 s[6:7], s[6:7], s[4:5]
	s_mul_i32 s8, s7, 24
	s_mul_hi_u32 s9, s6, 24
	s_mul_i32 s10, s6, 24
	s_add_i32 s9, s9, s8
	s_waitcnt vmcnt(0)
	v_add_co_u32 v12, vcc_lo, v4, s10
	v_add_co_ci_u32_e64 v13, null, s9, v5, vcc_lo
	s_and_saveexec_b32 s8, s0
	s_cbranch_execz .LBB1_225
; %bb.224:
	v_mov_b32_e32 v8, s1
	v_mov_b32_e32 v10, 2
	;; [unrolled: 1-line block ×3, first 2 shown]
	global_store_dwordx4 v[12:13], v[8:11], off offset:8
.LBB1_225:
	s_or_b32 exec_lo, exec_lo, s8
	v_cvt_f64_f32_e32 v[2:3], v29
	s_lshl_b64 s[6:7], s[6:7], 12
	s_mov_b32 s8, 0
	v_add_co_u32 v10, vcc_lo, v6, s6
	v_add_co_ci_u32_e64 v11, null, s7, v7, vcc_lo
	s_mov_b32 s9, s8
	s_mov_b32 s10, s8
	;; [unrolled: 1-line block ×3, first 2 shown]
	v_mov_b32_e32 v6, s8
	v_mov_b32_e32 v7, s9
	;; [unrolled: 1-line block ×4, first 2 shown]
	v_readfirstlane_b32 s6, v10
	v_readfirstlane_b32 s7, v11
	v_and_or_b32 v0, 0xffffff1d, v0, 34
	global_store_dwordx4 v30, v[6:9], s[6:7] offset:16
	global_store_dwordx4 v30, v[6:9], s[6:7] offset:32
	global_store_dwordx4 v30, v[0:3], s[6:7]
	global_store_dwordx4 v30, v[6:9], s[6:7] offset:48
	s_and_saveexec_b32 s1, s0
	s_cbranch_execz .LBB1_233
; %bb.226:
	v_mov_b32_e32 v6, 0
	v_mov_b32_e32 v7, s4
	;; [unrolled: 1-line block ×3, first 2 shown]
	s_clause 0x1
	global_load_dwordx2 v[9:10], v6, s[2:3] offset:32 glc dlc
	global_load_dwordx2 v[0:1], v6, s[2:3] offset:40
	s_waitcnt vmcnt(0)
	v_readfirstlane_b32 s6, v0
	v_readfirstlane_b32 s7, v1
	s_and_b64 s[6:7], s[6:7], s[4:5]
	s_mul_i32 s7, s7, 24
	s_mul_hi_u32 s8, s6, 24
	s_mul_i32 s6, s6, 24
	s_add_i32 s8, s8, s7
	v_add_co_u32 v4, vcc_lo, v4, s6
	v_add_co_ci_u32_e64 v5, null, s8, v5, vcc_lo
	s_mov_b32 s6, exec_lo
	global_store_dwordx2 v[4:5], v[9:10], off
	s_waitcnt_vscnt null, 0x0
	global_atomic_cmpswap_x2 v[2:3], v6, v[7:10], s[2:3] offset:32 glc
	s_waitcnt vmcnt(0)
	v_cmpx_ne_u64_e64 v[2:3], v[9:10]
	s_cbranch_execz .LBB1_229
; %bb.227:
	s_mov_b32 s7, 0
.LBB1_228:                              ; =>This Inner Loop Header: Depth=1
	v_mov_b32_e32 v0, s4
	v_mov_b32_e32 v1, s5
	s_sleep 1
	global_store_dwordx2 v[4:5], v[2:3], off
	s_waitcnt_vscnt null, 0x0
	global_atomic_cmpswap_x2 v[0:1], v6, v[0:3], s[2:3] offset:32 glc
	s_waitcnt vmcnt(0)
	v_cmp_eq_u64_e32 vcc_lo, v[0:1], v[2:3]
	v_mov_b32_e32 v3, v1
	v_mov_b32_e32 v2, v0
	s_or_b32 s7, vcc_lo, s7
	s_andn2_b32 exec_lo, exec_lo, s7
	s_cbranch_execnz .LBB1_228
.LBB1_229:
	s_or_b32 exec_lo, exec_lo, s6
	v_mov_b32_e32 v3, 0
	s_mov_b32 s7, exec_lo
	s_mov_b32 s6, exec_lo
	v_mbcnt_lo_u32_b32 v2, s7, 0
	global_load_dwordx2 v[0:1], v3, s[2:3] offset:16
	v_cmpx_eq_u32_e32 0, v2
	s_cbranch_execz .LBB1_231
; %bb.230:
	s_bcnt1_i32_b32 s7, s7
	v_mov_b32_e32 v2, s7
	s_waitcnt vmcnt(0)
	global_atomic_add_x2 v[0:1], v[2:3], off offset:8
.LBB1_231:
	s_or_b32 exec_lo, exec_lo, s6
	s_waitcnt vmcnt(0)
	global_load_dwordx2 v[2:3], v[0:1], off offset:16
	s_waitcnt vmcnt(0)
	v_cmp_eq_u64_e32 vcc_lo, 0, v[2:3]
	s_cbranch_vccnz .LBB1_233
; %bb.232:
	global_load_dword v0, v[0:1], off offset:24
	v_mov_b32_e32 v1, 0
	s_waitcnt vmcnt(0)
	v_readfirstlane_b32 s6, v0
	s_waitcnt_vscnt null, 0x0
	global_store_dwordx2 v[2:3], v[0:1], off
	s_and_b32 m0, s6, 0x7fffff
	s_sendmsg sendmsg(MSG_INTERRUPT)
.LBB1_233:
	s_or_b32 exec_lo, exec_lo, s1
	s_branch .LBB1_237
	.p2align	6
.LBB1_234:                              ;   in Loop: Header=BB1_237 Depth=1
	s_or_b32 exec_lo, exec_lo, s1
	v_readfirstlane_b32 s1, v0
	s_cmp_eq_u32 s1, 0
	s_cbranch_scc1 .LBB1_236
; %bb.235:                              ;   in Loop: Header=BB1_237 Depth=1
	s_sleep 1
	s_cbranch_execnz .LBB1_237
	s_branch .LBB1_239
	.p2align	6
.LBB1_236:
	s_branch .LBB1_239
.LBB1_237:                              ; =>This Inner Loop Header: Depth=1
	v_mov_b32_e32 v0, 1
	s_and_saveexec_b32 s1, s0
	s_cbranch_execz .LBB1_234
; %bb.238:                              ;   in Loop: Header=BB1_237 Depth=1
	global_load_dword v0, v[12:13], off offset:20 glc dlc
	s_waitcnt vmcnt(0)
	buffer_gl1_inv
	buffer_gl0_inv
	v_and_b32_e32 v0, 1, v0
	s_branch .LBB1_234
.LBB1_239:
	s_and_b32 exec_lo, exec_lo, s0
	s_cbranch_execz .LBB1_243
; %bb.240:
	v_mov_b32_e32 v6, 0
	s_clause 0x2
	global_load_dwordx2 v[0:1], v6, s[2:3] offset:40
	global_load_dwordx2 v[9:10], v6, s[2:3] offset:24 glc dlc
	global_load_dwordx2 v[2:3], v6, s[2:3]
	s_waitcnt vmcnt(2)
	v_readfirstlane_b32 s6, v0
	v_readfirstlane_b32 s7, v1
	s_add_u32 s8, s6, 1
	s_addc_u32 s9, s7, 0
	s_add_u32 s0, s8, s4
	s_addc_u32 s1, s9, s5
	s_cmp_eq_u64 s[0:1], 0
	s_cselect_b32 s1, s9, s1
	s_cselect_b32 s0, s8, s0
	v_mov_b32_e32 v8, s1
	s_and_b64 s[4:5], s[0:1], s[6:7]
	v_mov_b32_e32 v7, s0
	s_mul_i32 s5, s5, 24
	s_mul_hi_u32 s6, s4, 24
	s_mul_i32 s4, s4, 24
	s_add_i32 s6, s6, s5
	s_waitcnt vmcnt(0)
	v_add_co_u32 v4, vcc_lo, v2, s4
	v_add_co_ci_u32_e64 v5, null, s6, v3, vcc_lo
	global_store_dwordx2 v[4:5], v[9:10], off
	s_waitcnt_vscnt null, 0x0
	global_atomic_cmpswap_x2 v[2:3], v6, v[7:10], s[2:3] offset:24 glc
	s_waitcnt vmcnt(0)
	v_cmp_ne_u64_e32 vcc_lo, v[2:3], v[9:10]
	s_and_b32 exec_lo, exec_lo, vcc_lo
	s_cbranch_execz .LBB1_243
; %bb.241:
	s_mov_b32 s4, 0
.LBB1_242:                              ; =>This Inner Loop Header: Depth=1
	v_mov_b32_e32 v0, s0
	v_mov_b32_e32 v1, s1
	s_sleep 1
	global_store_dwordx2 v[4:5], v[2:3], off
	s_waitcnt_vscnt null, 0x0
	global_atomic_cmpswap_x2 v[0:1], v6, v[0:3], s[2:3] offset:24 glc
	s_waitcnt vmcnt(0)
	v_cmp_eq_u64_e32 vcc_lo, v[0:1], v[2:3]
	v_mov_b32_e32 v3, v1
	v_mov_b32_e32 v2, v0
	s_or_b32 s4, vcc_lo, s4
	s_andn2_b32 exec_lo, exec_lo, s4
	s_cbranch_execnz .LBB1_242
.LBB1_243:
	s_endpgm
	.section	.rodata,"a",@progbits
	.p2align	6, 0x0
	.amdhsa_kernel _Z32check_int8_quantized_correctnessPaP6__halfS1_S0_S0_i
		.amdhsa_group_segment_fixed_size 0
		.amdhsa_private_segment_fixed_size 0
		.amdhsa_kernarg_size 288
		.amdhsa_user_sgpr_count 6
		.amdhsa_user_sgpr_private_segment_buffer 1
		.amdhsa_user_sgpr_dispatch_ptr 0
		.amdhsa_user_sgpr_queue_ptr 0
		.amdhsa_user_sgpr_kernarg_segment_ptr 1
		.amdhsa_user_sgpr_dispatch_id 0
		.amdhsa_user_sgpr_flat_scratch_init 0
		.amdhsa_user_sgpr_private_segment_size 0
		.amdhsa_wavefront_size32 1
		.amdhsa_uses_dynamic_stack 0
		.amdhsa_system_sgpr_private_segment_wavefront_offset 0
		.amdhsa_system_sgpr_workgroup_id_x 1
		.amdhsa_system_sgpr_workgroup_id_y 0
		.amdhsa_system_sgpr_workgroup_id_z 0
		.amdhsa_system_sgpr_workgroup_info 0
		.amdhsa_system_vgpr_workitem_id 0
		.amdhsa_next_free_vgpr 37
		.amdhsa_next_free_sgpr 18
		.amdhsa_reserve_vcc 1
		.amdhsa_reserve_flat_scratch 0
		.amdhsa_float_round_mode_32 0
		.amdhsa_float_round_mode_16_64 0
		.amdhsa_float_denorm_mode_32 3
		.amdhsa_float_denorm_mode_16_64 3
		.amdhsa_dx10_clamp 1
		.amdhsa_ieee_mode 1
		.amdhsa_fp16_overflow 0
		.amdhsa_workgroup_processor_mode 1
		.amdhsa_memory_ordered 1
		.amdhsa_forward_progress 1
		.amdhsa_shared_vgpr_count 0
		.amdhsa_exception_fp_ieee_invalid_op 0
		.amdhsa_exception_fp_denorm_src 0
		.amdhsa_exception_fp_ieee_div_zero 0
		.amdhsa_exception_fp_ieee_overflow 0
		.amdhsa_exception_fp_ieee_underflow 0
		.amdhsa_exception_fp_ieee_inexact 0
		.amdhsa_exception_int_div_zero 0
	.end_amdhsa_kernel
	.text
.Lfunc_end1:
	.size	_Z32check_int8_quantized_correctnessPaP6__halfS1_S0_S0_i, .Lfunc_end1-_Z32check_int8_quantized_correctnessPaP6__halfS1_S0_S0_i
                                        ; -- End function
	.set _Z32check_int8_quantized_correctnessPaP6__halfS1_S0_S0_i.num_vgpr, 37
	.set _Z32check_int8_quantized_correctnessPaP6__halfS1_S0_S0_i.num_agpr, 0
	.set _Z32check_int8_quantized_correctnessPaP6__halfS1_S0_S0_i.numbered_sgpr, 18
	.set _Z32check_int8_quantized_correctnessPaP6__halfS1_S0_S0_i.num_named_barrier, 0
	.set _Z32check_int8_quantized_correctnessPaP6__halfS1_S0_S0_i.private_seg_size, 0
	.set _Z32check_int8_quantized_correctnessPaP6__halfS1_S0_S0_i.uses_vcc, 1
	.set _Z32check_int8_quantized_correctnessPaP6__halfS1_S0_S0_i.uses_flat_scratch, 0
	.set _Z32check_int8_quantized_correctnessPaP6__halfS1_S0_S0_i.has_dyn_sized_stack, 0
	.set _Z32check_int8_quantized_correctnessPaP6__halfS1_S0_S0_i.has_recursion, 0
	.set _Z32check_int8_quantized_correctnessPaP6__halfS1_S0_S0_i.has_indirect_call, 0
	.section	.AMDGPU.csdata,"",@progbits
; Kernel info:
; codeLenInByte = 10780
; TotalNumSgprs: 20
; NumVgprs: 37
; ScratchSize: 0
; MemoryBound: 0
; FloatMode: 240
; IeeeMode: 1
; LDSByteSize: 0 bytes/workgroup (compile time only)
; SGPRBlocks: 0
; VGPRBlocks: 4
; NumSGPRsForWavesPerEU: 20
; NumVGPRsForWavesPerEU: 37
; Occupancy: 16
; WaveLimiterHint : 1
; COMPUTE_PGM_RSRC2:SCRATCH_EN: 0
; COMPUTE_PGM_RSRC2:USER_SGPR: 6
; COMPUTE_PGM_RSRC2:TRAP_HANDLER: 0
; COMPUTE_PGM_RSRC2:TGID_X_EN: 1
; COMPUTE_PGM_RSRC2:TGID_Y_EN: 0
; COMPUTE_PGM_RSRC2:TGID_Z_EN: 0
; COMPUTE_PGM_RSRC2:TIDIG_COMP_CNT: 0
	.text
	.protected	_Z32check_int4_quantized_correctnessP7uint4_2P6__halfS2_S1_S1_i ; -- Begin function _Z32check_int4_quantized_correctnessP7uint4_2P6__halfS2_S1_S1_i
	.globl	_Z32check_int4_quantized_correctnessP7uint4_2P6__halfS2_S1_S1_i
	.p2align	8
	.type	_Z32check_int4_quantized_correctnessP7uint4_2P6__halfS2_S1_S1_i,@function
_Z32check_int4_quantized_correctnessP7uint4_2P6__halfS2_S1_S1_i: ; @_Z32check_int4_quantized_correctnessP7uint4_2P6__halfS2_S1_S1_i
; %bb.0:
	s_clause 0x1
	s_load_dword s0, s[4:5], 0x2c
	s_load_dword s10, s[4:5], 0x1c
	s_add_u32 s8, s4, 32
	s_addc_u32 s9, s5, 0
	s_waitcnt lgkmcnt(0)
	s_and_b32 s0, s0, 0xffff
	v_mad_u64_u32 v[26:27], null, s6, s0, v[0:1]
	s_lshl_b32 s0, s10, 1
	v_cmp_gt_i32_e32 vcc_lo, s0, v26
	s_and_saveexec_b32 s0, vcc_lo
	s_cbranch_execz .LBB2_243
; %bb.1:
	s_clause 0x1
	s_load_dwordx4 s[0:3], s[4:5], 0x0
	s_load_dwordx2 s[6:7], s[4:5], 0x10
	s_cmp_lt_i32 s10, 1
	s_cbranch_scc1 .LBB2_4
; %bb.2:
	v_mov_b32_e32 v2, 0
	v_mul_lo_u32 v0, v26, s10
	v_mov_b32_e32 v32, 0
	global_load_dword v4, v2, s[4:5] offset:24
	v_ashrrev_i32_e32 v1, 31, v0
	s_waitcnt lgkmcnt(0)
	v_add_co_u32 v0, vcc_lo, s0, v0
	s_add_u32 s0, s2, 2
	s_mov_b32 s2, s10
	v_add_co_ci_u32_e64 v1, null, s1, v1, vcc_lo
	s_addc_u32 s1, s3, 0
	s_waitcnt vmcnt(0)
	v_cvt_f32_f16_sdwa v3, v4 dst_sel:DWORD dst_unused:UNUSED_PAD src0_sel:WORD_1
	v_cvt_f32_f16_e32 v4, v4
	.p2align	6
.LBB2_3:                                ; =>This Inner Loop Header: Depth=1
	global_load_ubyte v5, v[0:1], off
	global_load_dword v6, v2, s[0:1] offset:-2
	v_add_co_u32 v0, vcc_lo, v0, 1
	s_add_i32 s2, s2, -1
	v_add_co_ci_u32_e64 v1, null, 0, v1, vcc_lo
	s_add_u32 s0, s0, 4
	s_addc_u32 s1, s1, 0
	s_cmp_eq_u32 s2, 0
	s_waitcnt vmcnt(1)
	v_and_b32_e32 v7, 15, v5
	v_lshrrev_b16 v5, 4, v5
	v_cvt_f32_ubyte0_e32 v7, v7
	v_cvt_f32_ubyte0_e32 v5, v5
	v_sub_f32_e32 v7, v7, v3
	v_sub_f32_e32 v5, v5, v3
	v_mul_f32_e32 v7, v7, v4
	v_mul_f32_e32 v5, v5, v4
	s_waitcnt vmcnt(0)
	v_fma_mix_f32 v7, v7, v6, v32 op_sel_hi:[0,1,0]
	v_fma_mix_f32 v32, v5, v6, v7 op_sel:[0,1,0] op_sel_hi:[0,1,0]
	s_cbranch_scc0 .LBB2_3
	s_branch .LBB2_5
.LBB2_4:
	v_mov_b32_e32 v32, 0
.LBB2_5:
	v_ashrrev_i32_e32 v27, 31, v26
	v_lshlrev_b64 v[0:1], 1, v[26:27]
	s_waitcnt lgkmcnt(0)
	v_add_co_u32 v0, vcc_lo, s6, v0
	v_add_co_ci_u32_e64 v1, null, s7, v1, vcc_lo
	global_load_ushort v2, v[0:1], off
	v_cvt_f64_i32_e32 v[0:1], s10
	v_ldexp_f64 v[0:1], v[0:1], -3
	v_ldexp_f64 v[0:1], v[0:1], -8
	v_cvt_f32_f64_e32 v0, v[0:1]
	s_waitcnt vmcnt(0)
	v_cvt_f32_f16_e32 v33, v2
	v_sub_f32_e32 v29, v32, v33
	v_cmp_gt_f32_e32 vcc_lo, v29, v0
	v_cmp_lt_f32_e64 s0, v29, -v0
	s_or_b32 s0, vcc_lo, s0
	s_and_b32 exec_lo, exec_lo, s0
	s_cbranch_execz .LBB2_243
; %bb.6:
	s_load_dwordx2 s[2:3], s[8:9], 0x50
	v_mbcnt_lo_u32_b32 v31, -1, 0
	v_mov_b32_e32 v6, 0
	v_mov_b32_e32 v7, 0
	v_readfirstlane_b32 s0, v31
	v_cmp_eq_u32_e64 s0, s0, v31
	s_and_saveexec_b32 s1, s0
	s_cbranch_execz .LBB2_12
; %bb.7:
	v_mov_b32_e32 v0, 0
	s_mov_b32 s4, exec_lo
	s_waitcnt lgkmcnt(0)
	global_load_dwordx2 v[3:4], v0, s[2:3] offset:24 glc dlc
	s_waitcnt vmcnt(0)
	buffer_gl1_inv
	buffer_gl0_inv
	s_clause 0x1
	global_load_dwordx2 v[1:2], v0, s[2:3] offset:40
	global_load_dwordx2 v[5:6], v0, s[2:3]
	s_waitcnt vmcnt(1)
	v_and_b32_e32 v2, v2, v4
	v_and_b32_e32 v1, v1, v3
	v_mul_lo_u32 v2, v2, 24
	v_mul_hi_u32 v7, v1, 24
	v_mul_lo_u32 v1, v1, 24
	v_add_nc_u32_e32 v2, v7, v2
	s_waitcnt vmcnt(0)
	v_add_co_u32 v1, vcc_lo, v5, v1
	v_add_co_ci_u32_e64 v2, null, v6, v2, vcc_lo
	global_load_dwordx2 v[1:2], v[1:2], off glc dlc
	s_waitcnt vmcnt(0)
	global_atomic_cmpswap_x2 v[6:7], v0, v[1:4], s[2:3] offset:24 glc
	s_waitcnt vmcnt(0)
	buffer_gl1_inv
	buffer_gl0_inv
	v_cmpx_ne_u64_e64 v[6:7], v[3:4]
	s_cbranch_execz .LBB2_11
; %bb.8:
	s_mov_b32 s5, 0
	.p2align	6
.LBB2_9:                                ; =>This Inner Loop Header: Depth=1
	s_sleep 1
	s_clause 0x1
	global_load_dwordx2 v[1:2], v0, s[2:3] offset:40
	global_load_dwordx2 v[8:9], v0, s[2:3]
	v_mov_b32_e32 v3, v6
	v_mov_b32_e32 v4, v7
	s_waitcnt vmcnt(1)
	v_and_b32_e32 v1, v1, v3
	v_and_b32_e32 v2, v2, v4
	s_waitcnt vmcnt(0)
	v_mad_u64_u32 v[5:6], null, v1, 24, v[8:9]
	v_mov_b32_e32 v1, v6
	v_mad_u64_u32 v[1:2], null, v2, 24, v[1:2]
	v_mov_b32_e32 v6, v1
	global_load_dwordx2 v[1:2], v[5:6], off glc dlc
	s_waitcnt vmcnt(0)
	global_atomic_cmpswap_x2 v[6:7], v0, v[1:4], s[2:3] offset:24 glc
	s_waitcnt vmcnt(0)
	buffer_gl1_inv
	buffer_gl0_inv
	v_cmp_eq_u64_e32 vcc_lo, v[6:7], v[3:4]
	s_or_b32 s5, vcc_lo, s5
	s_andn2_b32 exec_lo, exec_lo, s5
	s_cbranch_execnz .LBB2_9
; %bb.10:
	s_or_b32 exec_lo, exec_lo, s5
.LBB2_11:
	s_or_b32 exec_lo, exec_lo, s4
.LBB2_12:
	s_or_b32 exec_lo, exec_lo, s1
	v_mov_b32_e32 v5, 0
	v_readfirstlane_b32 s5, v7
	v_readfirstlane_b32 s4, v6
	s_mov_b32 s1, exec_lo
	s_waitcnt lgkmcnt(0)
	s_clause 0x1
	global_load_dwordx2 v[8:9], v5, s[2:3] offset:40
	global_load_dwordx4 v[0:3], v5, s[2:3]
	s_waitcnt vmcnt(1)
	v_readfirstlane_b32 s6, v8
	v_readfirstlane_b32 s7, v9
	s_and_b64 s[6:7], s[6:7], s[4:5]
	s_mul_i32 s8, s7, 24
	s_mul_hi_u32 s9, s6, 24
	s_mul_i32 s10, s6, 24
	s_add_i32 s9, s9, s8
	s_waitcnt vmcnt(0)
	v_add_co_u32 v8, vcc_lo, v0, s10
	v_add_co_ci_u32_e64 v9, null, s9, v1, vcc_lo
	s_and_saveexec_b32 s8, s0
	s_cbranch_execz .LBB2_14
; %bb.13:
	v_mov_b32_e32 v4, s1
	v_mov_b32_e32 v6, 2
	;; [unrolled: 1-line block ×3, first 2 shown]
	global_store_dwordx4 v[8:9], v[4:7], off offset:8
.LBB2_14:
	s_or_b32 exec_lo, exec_lo, s8
	s_lshl_b64 s[6:7], s[6:7], 12
	v_lshlrev_b32_e32 v30, 6, v31
	v_add_co_u32 v2, vcc_lo, v2, s6
	v_add_co_ci_u32_e64 v3, null, s7, v3, vcc_lo
	s_mov_b32 s8, 0
	v_add_co_u32 v10, vcc_lo, v2, v30
	s_mov_b32 s11, s8
	s_mov_b32 s9, s8
	;; [unrolled: 1-line block ×3, first 2 shown]
	v_mov_b32_e32 v4, 33
	v_mov_b32_e32 v6, v5
	;; [unrolled: 1-line block ×3, first 2 shown]
	v_readfirstlane_b32 s6, v2
	v_readfirstlane_b32 s7, v3
	v_mov_b32_e32 v15, s11
	v_add_co_ci_u32_e64 v11, null, 0, v3, vcc_lo
	v_mov_b32_e32 v14, s10
	v_mov_b32_e32 v13, s9
	;; [unrolled: 1-line block ×3, first 2 shown]
	global_store_dwordx4 v30, v[4:7], s[6:7]
	global_store_dwordx4 v30, v[12:15], s[6:7] offset:16
	global_store_dwordx4 v30, v[12:15], s[6:7] offset:32
	;; [unrolled: 1-line block ×3, first 2 shown]
	s_and_saveexec_b32 s1, s0
	s_cbranch_execz .LBB2_22
; %bb.15:
	v_mov_b32_e32 v6, 0
	v_mov_b32_e32 v12, s4
	;; [unrolled: 1-line block ×3, first 2 shown]
	s_mov_b32 s6, exec_lo
	s_clause 0x1
	global_load_dwordx2 v[14:15], v6, s[2:3] offset:32 glc dlc
	global_load_dwordx2 v[2:3], v6, s[2:3] offset:40
	s_waitcnt vmcnt(0)
	v_and_b32_e32 v3, s5, v3
	v_and_b32_e32 v2, s4, v2
	v_mul_lo_u32 v3, v3, 24
	v_mul_hi_u32 v4, v2, 24
	v_mul_lo_u32 v2, v2, 24
	v_add_nc_u32_e32 v3, v4, v3
	v_add_co_u32 v4, vcc_lo, v0, v2
	v_add_co_ci_u32_e64 v5, null, v1, v3, vcc_lo
	global_store_dwordx2 v[4:5], v[14:15], off
	s_waitcnt_vscnt null, 0x0
	global_atomic_cmpswap_x2 v[2:3], v6, v[12:15], s[2:3] offset:32 glc
	s_waitcnt vmcnt(0)
	v_cmpx_ne_u64_e64 v[2:3], v[14:15]
	s_cbranch_execz .LBB2_18
; %bb.16:
	s_mov_b32 s7, 0
.LBB2_17:                               ; =>This Inner Loop Header: Depth=1
	v_mov_b32_e32 v0, s4
	v_mov_b32_e32 v1, s5
	s_sleep 1
	global_store_dwordx2 v[4:5], v[2:3], off
	s_waitcnt_vscnt null, 0x0
	global_atomic_cmpswap_x2 v[0:1], v6, v[0:3], s[2:3] offset:32 glc
	s_waitcnt vmcnt(0)
	v_cmp_eq_u64_e32 vcc_lo, v[0:1], v[2:3]
	v_mov_b32_e32 v3, v1
	v_mov_b32_e32 v2, v0
	s_or_b32 s7, vcc_lo, s7
	s_andn2_b32 exec_lo, exec_lo, s7
	s_cbranch_execnz .LBB2_17
.LBB2_18:
	s_or_b32 exec_lo, exec_lo, s6
	v_mov_b32_e32 v3, 0
	s_mov_b32 s7, exec_lo
	s_mov_b32 s6, exec_lo
	v_mbcnt_lo_u32_b32 v2, s7, 0
	global_load_dwordx2 v[0:1], v3, s[2:3] offset:16
	v_cmpx_eq_u32_e32 0, v2
	s_cbranch_execz .LBB2_20
; %bb.19:
	s_bcnt1_i32_b32 s7, s7
	v_mov_b32_e32 v2, s7
	s_waitcnt vmcnt(0)
	global_atomic_add_x2 v[0:1], v[2:3], off offset:8
.LBB2_20:
	s_or_b32 exec_lo, exec_lo, s6
	s_waitcnt vmcnt(0)
	global_load_dwordx2 v[2:3], v[0:1], off offset:16
	s_waitcnt vmcnt(0)
	v_cmp_eq_u64_e32 vcc_lo, 0, v[2:3]
	s_cbranch_vccnz .LBB2_22
; %bb.21:
	global_load_dword v0, v[0:1], off offset:24
	v_mov_b32_e32 v1, 0
	s_waitcnt vmcnt(0)
	v_readfirstlane_b32 s6, v0
	s_waitcnt_vscnt null, 0x0
	global_store_dwordx2 v[2:3], v[0:1], off
	s_and_b32 m0, s6, 0x7fffff
	s_sendmsg sendmsg(MSG_INTERRUPT)
.LBB2_22:
	s_or_b32 exec_lo, exec_lo, s1
	s_branch .LBB2_26
	.p2align	6
.LBB2_23:                               ;   in Loop: Header=BB2_26 Depth=1
	s_or_b32 exec_lo, exec_lo, s1
	v_readfirstlane_b32 s1, v0
	s_cmp_eq_u32 s1, 0
	s_cbranch_scc1 .LBB2_25
; %bb.24:                               ;   in Loop: Header=BB2_26 Depth=1
	s_sleep 1
	s_cbranch_execnz .LBB2_26
	s_branch .LBB2_28
	.p2align	6
.LBB2_25:
	s_branch .LBB2_28
.LBB2_26:                               ; =>This Inner Loop Header: Depth=1
	v_mov_b32_e32 v0, 1
	s_and_saveexec_b32 s1, s0
	s_cbranch_execz .LBB2_23
; %bb.27:                               ;   in Loop: Header=BB2_26 Depth=1
	global_load_dword v0, v[8:9], off offset:20 glc dlc
	s_waitcnt vmcnt(0)
	buffer_gl1_inv
	buffer_gl0_inv
	v_and_b32_e32 v0, 1, v0
	s_branch .LBB2_23
.LBB2_28:
	global_load_dwordx2 v[0:1], v[10:11], off
	s_and_saveexec_b32 s6, s0
	s_cbranch_execz .LBB2_32
; %bb.29:
	v_mov_b32_e32 v8, 0
	s_clause 0x2
	global_load_dwordx2 v[2:3], v8, s[2:3] offset:40
	global_load_dwordx2 v[11:12], v8, s[2:3] offset:24 glc dlc
	global_load_dwordx2 v[4:5], v8, s[2:3]
	s_waitcnt vmcnt(2)
	v_readfirstlane_b32 s8, v2
	v_readfirstlane_b32 s9, v3
	s_add_u32 s7, s8, 1
	s_addc_u32 s10, s9, 0
	s_add_u32 s0, s7, s4
	s_addc_u32 s1, s10, s5
	s_cmp_eq_u64 s[0:1], 0
	s_cselect_b32 s1, s10, s1
	s_cselect_b32 s0, s7, s0
	v_mov_b32_e32 v10, s1
	s_and_b64 s[4:5], s[0:1], s[8:9]
	v_mov_b32_e32 v9, s0
	s_mul_i32 s5, s5, 24
	s_mul_hi_u32 s7, s4, 24
	s_mul_i32 s4, s4, 24
	s_add_i32 s7, s7, s5
	s_waitcnt vmcnt(0)
	v_add_co_u32 v6, vcc_lo, v4, s4
	v_add_co_ci_u32_e64 v7, null, s7, v5, vcc_lo
	global_store_dwordx2 v[6:7], v[11:12], off
	s_waitcnt_vscnt null, 0x0
	global_atomic_cmpswap_x2 v[4:5], v8, v[9:12], s[2:3] offset:24 glc
	s_waitcnt vmcnt(0)
	v_cmp_ne_u64_e32 vcc_lo, v[4:5], v[11:12]
	s_and_b32 exec_lo, exec_lo, vcc_lo
	s_cbranch_execz .LBB2_32
; %bb.30:
	s_mov_b32 s4, 0
.LBB2_31:                               ; =>This Inner Loop Header: Depth=1
	v_mov_b32_e32 v2, s0
	v_mov_b32_e32 v3, s1
	s_sleep 1
	global_store_dwordx2 v[6:7], v[4:5], off
	s_waitcnt_vscnt null, 0x0
	global_atomic_cmpswap_x2 v[2:3], v8, v[2:5], s[2:3] offset:24 glc
	s_waitcnt vmcnt(0)
	v_cmp_eq_u64_e32 vcc_lo, v[2:3], v[4:5]
	v_mov_b32_e32 v5, v3
	v_mov_b32_e32 v4, v2
	s_or_b32 s4, vcc_lo, s4
	s_andn2_b32 exec_lo, exec_lo, s4
	s_cbranch_execnz .LBB2_31
.LBB2_32:
	s_or_b32 exec_lo, exec_lo, s6
	s_getpc_b64 s[4:5]
	s_add_u32 s4, s4, .str@rel32@lo+4
	s_addc_u32 s5, s5, .str@rel32@hi+12
	s_cmp_lg_u64 s[4:5], 0
	s_cbranch_scc0 .LBB2_111
; %bb.33:
	s_waitcnt vmcnt(0)
	v_and_b32_e32 v34, 2, v0
	v_mov_b32_e32 v7, 0
	v_and_b32_e32 v2, -3, v0
	v_mov_b32_e32 v3, v1
	v_mov_b32_e32 v8, 2
	;; [unrolled: 1-line block ×3, first 2 shown]
	s_mov_b64 s[6:7], 31
	s_branch .LBB2_35
.LBB2_34:                               ;   in Loop: Header=BB2_35 Depth=1
	s_or_b32 exec_lo, exec_lo, s12
	s_sub_u32 s6, s6, s8
	s_subb_u32 s7, s7, s9
	s_add_u32 s4, s4, s8
	s_addc_u32 s5, s5, s9
	s_cmp_lg_u64 s[6:7], 0
	s_cbranch_scc0 .LBB2_110
.LBB2_35:                               ; =>This Loop Header: Depth=1
                                        ;     Child Loop BB2_38 Depth 2
                                        ;     Child Loop BB2_45 Depth 2
	;; [unrolled: 1-line block ×11, first 2 shown]
	v_cmp_lt_u64_e64 s0, s[6:7], 56
	v_cmp_gt_u64_e64 s10, s[6:7], 7
	s_and_b32 s0, s0, exec_lo
	s_cselect_b32 s9, s7, 0
	s_cselect_b32 s8, s6, 56
	s_add_u32 s0, s4, 8
	s_addc_u32 s1, s5, 0
	s_and_b32 vcc_lo, exec_lo, s10
	s_cbranch_vccnz .LBB2_40
; %bb.36:                               ;   in Loop: Header=BB2_35 Depth=1
	v_mov_b32_e32 v4, 0
	v_mov_b32_e32 v5, 0
	s_cmp_eq_u64 s[6:7], 0
	s_cbranch_scc1 .LBB2_39
; %bb.37:                               ;   in Loop: Header=BB2_35 Depth=1
	s_lshl_b64 s[0:1], s[8:9], 3
	s_mov_b64 s[10:11], 0
	s_mov_b64 s[12:13], s[4:5]
.LBB2_38:                               ;   Parent Loop BB2_35 Depth=1
                                        ; =>  This Inner Loop Header: Depth=2
	global_load_ubyte v6, v7, s[12:13]
	s_waitcnt vmcnt(0)
	v_and_b32_e32 v6, 0xffff, v6
	v_lshlrev_b64 v[10:11], s10, v[6:7]
	s_add_u32 s10, s10, 8
	s_addc_u32 s11, s11, 0
	s_add_u32 s12, s12, 1
	s_addc_u32 s13, s13, 0
	s_cmp_lg_u32 s0, s10
	v_or_b32_e32 v4, v10, v4
	v_or_b32_e32 v5, v11, v5
	s_cbranch_scc1 .LBB2_38
.LBB2_39:                               ;   in Loop: Header=BB2_35 Depth=1
	s_mov_b64 s[0:1], s[4:5]
	s_mov_b32 s14, 0
	s_cbranch_execz .LBB2_41
	s_branch .LBB2_42
.LBB2_40:                               ;   in Loop: Header=BB2_35 Depth=1
	s_mov_b32 s14, 0
.LBB2_41:                               ;   in Loop: Header=BB2_35 Depth=1
	global_load_dwordx2 v[4:5], v7, s[4:5]
	s_add_i32 s14, s8, -8
.LBB2_42:                               ;   in Loop: Header=BB2_35 Depth=1
	s_add_u32 s10, s0, 8
	s_addc_u32 s11, s1, 0
	s_cmp_gt_u32 s14, 7
	s_cbranch_scc1 .LBB2_47
; %bb.43:                               ;   in Loop: Header=BB2_35 Depth=1
	v_mov_b32_e32 v10, 0
	v_mov_b32_e32 v11, 0
	s_cmp_eq_u32 s14, 0
	s_cbranch_scc1 .LBB2_46
; %bb.44:                               ;   in Loop: Header=BB2_35 Depth=1
	s_mov_b64 s[10:11], 0
	s_mov_b64 s[12:13], 0
.LBB2_45:                               ;   Parent Loop BB2_35 Depth=1
                                        ; =>  This Inner Loop Header: Depth=2
	s_add_u32 s16, s0, s12
	s_addc_u32 s17, s1, s13
	s_add_u32 s12, s12, 1
	global_load_ubyte v6, v7, s[16:17]
	s_addc_u32 s13, s13, 0
	s_waitcnt vmcnt(0)
	v_and_b32_e32 v6, 0xffff, v6
	v_lshlrev_b64 v[12:13], s10, v[6:7]
	s_add_u32 s10, s10, 8
	s_addc_u32 s11, s11, 0
	s_cmp_lg_u32 s14, s12
	v_or_b32_e32 v10, v12, v10
	v_or_b32_e32 v11, v13, v11
	s_cbranch_scc1 .LBB2_45
.LBB2_46:                               ;   in Loop: Header=BB2_35 Depth=1
	s_mov_b64 s[10:11], s[0:1]
	s_mov_b32 s15, 0
	s_cbranch_execz .LBB2_48
	s_branch .LBB2_49
.LBB2_47:                               ;   in Loop: Header=BB2_35 Depth=1
                                        ; implicit-def: $vgpr10_vgpr11
	s_mov_b32 s15, 0
.LBB2_48:                               ;   in Loop: Header=BB2_35 Depth=1
	global_load_dwordx2 v[10:11], v7, s[0:1]
	s_add_i32 s15, s14, -8
.LBB2_49:                               ;   in Loop: Header=BB2_35 Depth=1
	s_add_u32 s0, s10, 8
	s_addc_u32 s1, s11, 0
	s_cmp_gt_u32 s15, 7
	s_cbranch_scc1 .LBB2_54
; %bb.50:                               ;   in Loop: Header=BB2_35 Depth=1
	v_mov_b32_e32 v12, 0
	v_mov_b32_e32 v13, 0
	s_cmp_eq_u32 s15, 0
	s_cbranch_scc1 .LBB2_53
; %bb.51:                               ;   in Loop: Header=BB2_35 Depth=1
	s_mov_b64 s[0:1], 0
	s_mov_b64 s[12:13], 0
.LBB2_52:                               ;   Parent Loop BB2_35 Depth=1
                                        ; =>  This Inner Loop Header: Depth=2
	s_add_u32 s16, s10, s12
	s_addc_u32 s17, s11, s13
	s_add_u32 s12, s12, 1
	global_load_ubyte v6, v7, s[16:17]
	s_addc_u32 s13, s13, 0
	s_waitcnt vmcnt(0)
	v_and_b32_e32 v6, 0xffff, v6
	v_lshlrev_b64 v[14:15], s0, v[6:7]
	s_add_u32 s0, s0, 8
	s_addc_u32 s1, s1, 0
	s_cmp_lg_u32 s15, s12
	v_or_b32_e32 v12, v14, v12
	v_or_b32_e32 v13, v15, v13
	s_cbranch_scc1 .LBB2_52
.LBB2_53:                               ;   in Loop: Header=BB2_35 Depth=1
	s_mov_b64 s[0:1], s[10:11]
	s_mov_b32 s14, 0
	s_cbranch_execz .LBB2_55
	s_branch .LBB2_56
.LBB2_54:                               ;   in Loop: Header=BB2_35 Depth=1
	s_mov_b32 s14, 0
.LBB2_55:                               ;   in Loop: Header=BB2_35 Depth=1
	global_load_dwordx2 v[12:13], v7, s[10:11]
	s_add_i32 s14, s15, -8
.LBB2_56:                               ;   in Loop: Header=BB2_35 Depth=1
	s_add_u32 s10, s0, 8
	s_addc_u32 s11, s1, 0
	s_cmp_gt_u32 s14, 7
	s_cbranch_scc1 .LBB2_61
; %bb.57:                               ;   in Loop: Header=BB2_35 Depth=1
	v_mov_b32_e32 v14, 0
	v_mov_b32_e32 v15, 0
	s_cmp_eq_u32 s14, 0
	s_cbranch_scc1 .LBB2_60
; %bb.58:                               ;   in Loop: Header=BB2_35 Depth=1
	s_mov_b64 s[10:11], 0
	s_mov_b64 s[12:13], 0
.LBB2_59:                               ;   Parent Loop BB2_35 Depth=1
                                        ; =>  This Inner Loop Header: Depth=2
	s_add_u32 s16, s0, s12
	s_addc_u32 s17, s1, s13
	s_add_u32 s12, s12, 1
	global_load_ubyte v6, v7, s[16:17]
	s_addc_u32 s13, s13, 0
	s_waitcnt vmcnt(0)
	v_and_b32_e32 v6, 0xffff, v6
	v_lshlrev_b64 v[16:17], s10, v[6:7]
	s_add_u32 s10, s10, 8
	s_addc_u32 s11, s11, 0
	s_cmp_lg_u32 s14, s12
	v_or_b32_e32 v14, v16, v14
	v_or_b32_e32 v15, v17, v15
	s_cbranch_scc1 .LBB2_59
.LBB2_60:                               ;   in Loop: Header=BB2_35 Depth=1
	s_mov_b64 s[10:11], s[0:1]
	s_mov_b32 s15, 0
	s_cbranch_execz .LBB2_62
	s_branch .LBB2_63
.LBB2_61:                               ;   in Loop: Header=BB2_35 Depth=1
                                        ; implicit-def: $vgpr14_vgpr15
	s_mov_b32 s15, 0
.LBB2_62:                               ;   in Loop: Header=BB2_35 Depth=1
	global_load_dwordx2 v[14:15], v7, s[0:1]
	s_add_i32 s15, s14, -8
.LBB2_63:                               ;   in Loop: Header=BB2_35 Depth=1
	s_add_u32 s0, s10, 8
	s_addc_u32 s1, s11, 0
	s_cmp_gt_u32 s15, 7
	s_cbranch_scc1 .LBB2_68
; %bb.64:                               ;   in Loop: Header=BB2_35 Depth=1
	v_mov_b32_e32 v16, 0
	v_mov_b32_e32 v17, 0
	s_cmp_eq_u32 s15, 0
	s_cbranch_scc1 .LBB2_67
; %bb.65:                               ;   in Loop: Header=BB2_35 Depth=1
	s_mov_b64 s[0:1], 0
	s_mov_b64 s[12:13], 0
.LBB2_66:                               ;   Parent Loop BB2_35 Depth=1
                                        ; =>  This Inner Loop Header: Depth=2
	s_add_u32 s16, s10, s12
	s_addc_u32 s17, s11, s13
	s_add_u32 s12, s12, 1
	global_load_ubyte v6, v7, s[16:17]
	s_addc_u32 s13, s13, 0
	s_waitcnt vmcnt(0)
	v_and_b32_e32 v6, 0xffff, v6
	v_lshlrev_b64 v[18:19], s0, v[6:7]
	s_add_u32 s0, s0, 8
	s_addc_u32 s1, s1, 0
	s_cmp_lg_u32 s15, s12
	v_or_b32_e32 v16, v18, v16
	v_or_b32_e32 v17, v19, v17
	s_cbranch_scc1 .LBB2_66
.LBB2_67:                               ;   in Loop: Header=BB2_35 Depth=1
	s_mov_b64 s[0:1], s[10:11]
	s_mov_b32 s14, 0
	s_cbranch_execz .LBB2_69
	s_branch .LBB2_70
.LBB2_68:                               ;   in Loop: Header=BB2_35 Depth=1
	s_mov_b32 s14, 0
.LBB2_69:                               ;   in Loop: Header=BB2_35 Depth=1
	global_load_dwordx2 v[16:17], v7, s[10:11]
	s_add_i32 s14, s15, -8
.LBB2_70:                               ;   in Loop: Header=BB2_35 Depth=1
	s_add_u32 s10, s0, 8
	s_addc_u32 s11, s1, 0
	s_cmp_gt_u32 s14, 7
	s_cbranch_scc1 .LBB2_75
; %bb.71:                               ;   in Loop: Header=BB2_35 Depth=1
	v_mov_b32_e32 v18, 0
	v_mov_b32_e32 v19, 0
	s_cmp_eq_u32 s14, 0
	s_cbranch_scc1 .LBB2_74
; %bb.72:                               ;   in Loop: Header=BB2_35 Depth=1
	s_mov_b64 s[10:11], 0
	s_mov_b64 s[12:13], 0
.LBB2_73:                               ;   Parent Loop BB2_35 Depth=1
                                        ; =>  This Inner Loop Header: Depth=2
	s_add_u32 s16, s0, s12
	s_addc_u32 s17, s1, s13
	s_add_u32 s12, s12, 1
	global_load_ubyte v6, v7, s[16:17]
	s_addc_u32 s13, s13, 0
	s_waitcnt vmcnt(0)
	v_and_b32_e32 v6, 0xffff, v6
	v_lshlrev_b64 v[20:21], s10, v[6:7]
	s_add_u32 s10, s10, 8
	s_addc_u32 s11, s11, 0
	s_cmp_lg_u32 s14, s12
	v_or_b32_e32 v18, v20, v18
	v_or_b32_e32 v19, v21, v19
	s_cbranch_scc1 .LBB2_73
.LBB2_74:                               ;   in Loop: Header=BB2_35 Depth=1
	s_mov_b64 s[10:11], s[0:1]
	s_mov_b32 s15, 0
	s_cbranch_execz .LBB2_76
	s_branch .LBB2_77
.LBB2_75:                               ;   in Loop: Header=BB2_35 Depth=1
                                        ; implicit-def: $vgpr18_vgpr19
	s_mov_b32 s15, 0
.LBB2_76:                               ;   in Loop: Header=BB2_35 Depth=1
	global_load_dwordx2 v[18:19], v7, s[0:1]
	s_add_i32 s15, s14, -8
.LBB2_77:                               ;   in Loop: Header=BB2_35 Depth=1
	s_cmp_gt_u32 s15, 7
	s_cbranch_scc1 .LBB2_82
; %bb.78:                               ;   in Loop: Header=BB2_35 Depth=1
	v_mov_b32_e32 v20, 0
	v_mov_b32_e32 v21, 0
	s_cmp_eq_u32 s15, 0
	s_cbranch_scc1 .LBB2_81
; %bb.79:                               ;   in Loop: Header=BB2_35 Depth=1
	s_mov_b64 s[0:1], 0
	s_mov_b64 s[12:13], s[10:11]
.LBB2_80:                               ;   Parent Loop BB2_35 Depth=1
                                        ; =>  This Inner Loop Header: Depth=2
	global_load_ubyte v6, v7, s[12:13]
	s_add_i32 s15, s15, -1
	s_waitcnt vmcnt(0)
	v_and_b32_e32 v6, 0xffff, v6
	v_lshlrev_b64 v[22:23], s0, v[6:7]
	s_add_u32 s0, s0, 8
	s_addc_u32 s1, s1, 0
	s_add_u32 s12, s12, 1
	s_addc_u32 s13, s13, 0
	s_cmp_lg_u32 s15, 0
	v_or_b32_e32 v20, v22, v20
	v_or_b32_e32 v21, v23, v21
	s_cbranch_scc1 .LBB2_80
.LBB2_81:                               ;   in Loop: Header=BB2_35 Depth=1
	s_cbranch_execz .LBB2_83
	s_branch .LBB2_84
.LBB2_82:                               ;   in Loop: Header=BB2_35 Depth=1
.LBB2_83:                               ;   in Loop: Header=BB2_35 Depth=1
	global_load_dwordx2 v[20:21], v7, s[10:11]
.LBB2_84:                               ;   in Loop: Header=BB2_35 Depth=1
	v_readfirstlane_b32 s0, v31
	v_mov_b32_e32 v27, 0
	v_mov_b32_e32 v28, 0
	v_cmp_eq_u32_e64 s0, s0, v31
	s_and_saveexec_b32 s1, s0
	s_cbranch_execz .LBB2_90
; %bb.85:                               ;   in Loop: Header=BB2_35 Depth=1
	global_load_dwordx2 v[24:25], v7, s[2:3] offset:24 glc dlc
	s_waitcnt vmcnt(0)
	buffer_gl1_inv
	buffer_gl0_inv
	s_clause 0x1
	global_load_dwordx2 v[22:23], v7, s[2:3] offset:40
	global_load_dwordx2 v[27:28], v7, s[2:3]
	s_mov_b32 s10, exec_lo
	s_waitcnt vmcnt(1)
	v_and_b32_e32 v6, v23, v25
	v_and_b32_e32 v22, v22, v24
	v_mul_lo_u32 v6, v6, 24
	v_mul_hi_u32 v23, v22, 24
	v_mul_lo_u32 v22, v22, 24
	v_add_nc_u32_e32 v6, v23, v6
	s_waitcnt vmcnt(0)
	v_add_co_u32 v22, vcc_lo, v27, v22
	v_add_co_ci_u32_e64 v23, null, v28, v6, vcc_lo
	global_load_dwordx2 v[22:23], v[22:23], off glc dlc
	s_waitcnt vmcnt(0)
	global_atomic_cmpswap_x2 v[27:28], v7, v[22:25], s[2:3] offset:24 glc
	s_waitcnt vmcnt(0)
	buffer_gl1_inv
	buffer_gl0_inv
	v_cmpx_ne_u64_e64 v[27:28], v[24:25]
	s_cbranch_execz .LBB2_89
; %bb.86:                               ;   in Loop: Header=BB2_35 Depth=1
	s_mov_b32 s11, 0
	.p2align	6
.LBB2_87:                               ;   Parent Loop BB2_35 Depth=1
                                        ; =>  This Inner Loop Header: Depth=2
	s_sleep 1
	s_clause 0x1
	global_load_dwordx2 v[22:23], v7, s[2:3] offset:40
	global_load_dwordx2 v[35:36], v7, s[2:3]
	v_mov_b32_e32 v24, v27
	v_mov_b32_e32 v25, v28
	s_waitcnt vmcnt(1)
	v_and_b32_e32 v6, v22, v24
	v_and_b32_e32 v22, v23, v25
	s_waitcnt vmcnt(0)
	v_mad_u64_u32 v[27:28], null, v6, 24, v[35:36]
	v_mov_b32_e32 v6, v28
	v_mad_u64_u32 v[22:23], null, v22, 24, v[6:7]
	v_mov_b32_e32 v28, v22
	global_load_dwordx2 v[22:23], v[27:28], off glc dlc
	s_waitcnt vmcnt(0)
	global_atomic_cmpswap_x2 v[27:28], v7, v[22:25], s[2:3] offset:24 glc
	s_waitcnt vmcnt(0)
	buffer_gl1_inv
	buffer_gl0_inv
	v_cmp_eq_u64_e32 vcc_lo, v[27:28], v[24:25]
	s_or_b32 s11, vcc_lo, s11
	s_andn2_b32 exec_lo, exec_lo, s11
	s_cbranch_execnz .LBB2_87
; %bb.88:                               ;   in Loop: Header=BB2_35 Depth=1
	s_or_b32 exec_lo, exec_lo, s11
.LBB2_89:                               ;   in Loop: Header=BB2_35 Depth=1
	s_or_b32 exec_lo, exec_lo, s10
.LBB2_90:                               ;   in Loop: Header=BB2_35 Depth=1
	s_or_b32 exec_lo, exec_lo, s1
	s_clause 0x1
	global_load_dwordx2 v[35:36], v7, s[2:3] offset:40
	global_load_dwordx4 v[22:25], v7, s[2:3]
	v_readfirstlane_b32 s11, v28
	v_readfirstlane_b32 s10, v27
	s_mov_b32 s1, exec_lo
	s_waitcnt vmcnt(1)
	v_readfirstlane_b32 s12, v35
	v_readfirstlane_b32 s13, v36
	s_and_b64 s[12:13], s[12:13], s[10:11]
	s_mul_i32 s14, s13, 24
	s_mul_hi_u32 s15, s12, 24
	s_mul_i32 s16, s12, 24
	s_add_i32 s15, s15, s14
	s_waitcnt vmcnt(0)
	v_add_co_u32 v27, vcc_lo, v22, s16
	v_add_co_ci_u32_e64 v28, null, s15, v23, vcc_lo
	s_and_saveexec_b32 s14, s0
	s_cbranch_execz .LBB2_92
; %bb.91:                               ;   in Loop: Header=BB2_35 Depth=1
	v_mov_b32_e32 v6, s1
	global_store_dwordx4 v[27:28], v[6:9], off offset:8
.LBB2_92:                               ;   in Loop: Header=BB2_35 Depth=1
	s_or_b32 exec_lo, exec_lo, s14
	v_cmp_lt_u64_e64 vcc_lo, s[6:7], 57
	s_lshl_b64 s[12:13], s[12:13], 12
	v_and_b32_e32 v2, 0xffffff1f, v2
	s_lshl_b32 s1, s8, 2
	s_add_i32 s1, s1, 28
	v_cndmask_b32_e32 v6, 0, v34, vcc_lo
	v_add_co_u32 v24, vcc_lo, v24, s12
	v_add_co_ci_u32_e64 v25, null, s13, v25, vcc_lo
	v_or_b32_e32 v2, v2, v6
	v_readfirstlane_b32 s12, v24
	v_readfirstlane_b32 s13, v25
	v_and_or_b32 v2, 0x1e0, s1, v2
	global_store_dwordx4 v30, v[10:13], s[12:13] offset:16
	global_store_dwordx4 v30, v[2:5], s[12:13]
	global_store_dwordx4 v30, v[14:17], s[12:13] offset:32
	global_store_dwordx4 v30, v[18:21], s[12:13] offset:48
	s_and_saveexec_b32 s1, s0
	s_cbranch_execz .LBB2_100
; %bb.93:                               ;   in Loop: Header=BB2_35 Depth=1
	s_clause 0x1
	global_load_dwordx2 v[14:15], v7, s[2:3] offset:32 glc dlc
	global_load_dwordx2 v[2:3], v7, s[2:3] offset:40
	v_mov_b32_e32 v12, s10
	v_mov_b32_e32 v13, s11
	s_waitcnt vmcnt(0)
	v_readfirstlane_b32 s12, v2
	v_readfirstlane_b32 s13, v3
	s_and_b64 s[12:13], s[12:13], s[10:11]
	s_mul_i32 s13, s13, 24
	s_mul_hi_u32 s14, s12, 24
	s_mul_i32 s12, s12, 24
	s_add_i32 s14, s14, s13
	v_add_co_u32 v10, vcc_lo, v22, s12
	v_add_co_ci_u32_e64 v11, null, s14, v23, vcc_lo
	s_mov_b32 s12, exec_lo
	global_store_dwordx2 v[10:11], v[14:15], off
	s_waitcnt_vscnt null, 0x0
	global_atomic_cmpswap_x2 v[4:5], v7, v[12:15], s[2:3] offset:32 glc
	s_waitcnt vmcnt(0)
	v_cmpx_ne_u64_e64 v[4:5], v[14:15]
	s_cbranch_execz .LBB2_96
; %bb.94:                               ;   in Loop: Header=BB2_35 Depth=1
	s_mov_b32 s13, 0
.LBB2_95:                               ;   Parent Loop BB2_35 Depth=1
                                        ; =>  This Inner Loop Header: Depth=2
	v_mov_b32_e32 v2, s10
	v_mov_b32_e32 v3, s11
	s_sleep 1
	global_store_dwordx2 v[10:11], v[4:5], off
	s_waitcnt_vscnt null, 0x0
	global_atomic_cmpswap_x2 v[2:3], v7, v[2:5], s[2:3] offset:32 glc
	s_waitcnt vmcnt(0)
	v_cmp_eq_u64_e32 vcc_lo, v[2:3], v[4:5]
	v_mov_b32_e32 v5, v3
	v_mov_b32_e32 v4, v2
	s_or_b32 s13, vcc_lo, s13
	s_andn2_b32 exec_lo, exec_lo, s13
	s_cbranch_execnz .LBB2_95
.LBB2_96:                               ;   in Loop: Header=BB2_35 Depth=1
	s_or_b32 exec_lo, exec_lo, s12
	global_load_dwordx2 v[2:3], v7, s[2:3] offset:16
	s_mov_b32 s13, exec_lo
	s_mov_b32 s12, exec_lo
	v_mbcnt_lo_u32_b32 v4, s13, 0
	v_cmpx_eq_u32_e32 0, v4
	s_cbranch_execz .LBB2_98
; %bb.97:                               ;   in Loop: Header=BB2_35 Depth=1
	s_bcnt1_i32_b32 s13, s13
	v_mov_b32_e32 v6, s13
	s_waitcnt vmcnt(0)
	global_atomic_add_x2 v[2:3], v[6:7], off offset:8
.LBB2_98:                               ;   in Loop: Header=BB2_35 Depth=1
	s_or_b32 exec_lo, exec_lo, s12
	s_waitcnt vmcnt(0)
	global_load_dwordx2 v[4:5], v[2:3], off offset:16
	s_waitcnt vmcnt(0)
	v_cmp_eq_u64_e32 vcc_lo, 0, v[4:5]
	s_cbranch_vccnz .LBB2_100
; %bb.99:                               ;   in Loop: Header=BB2_35 Depth=1
	global_load_dword v6, v[2:3], off offset:24
	s_waitcnt vmcnt(0)
	v_readfirstlane_b32 s12, v6
	s_waitcnt_vscnt null, 0x0
	global_store_dwordx2 v[4:5], v[6:7], off
	s_and_b32 m0, s12, 0x7fffff
	s_sendmsg sendmsg(MSG_INTERRUPT)
.LBB2_100:                              ;   in Loop: Header=BB2_35 Depth=1
	s_or_b32 exec_lo, exec_lo, s1
	v_add_co_u32 v2, vcc_lo, v24, v30
	v_add_co_ci_u32_e64 v3, null, 0, v25, vcc_lo
	s_branch .LBB2_104
	.p2align	6
.LBB2_101:                              ;   in Loop: Header=BB2_104 Depth=2
	s_or_b32 exec_lo, exec_lo, s1
	v_readfirstlane_b32 s1, v4
	s_cmp_eq_u32 s1, 0
	s_cbranch_scc1 .LBB2_103
; %bb.102:                              ;   in Loop: Header=BB2_104 Depth=2
	s_sleep 1
	s_cbranch_execnz .LBB2_104
	s_branch .LBB2_106
	.p2align	6
.LBB2_103:                              ;   in Loop: Header=BB2_35 Depth=1
	s_branch .LBB2_106
.LBB2_104:                              ;   Parent Loop BB2_35 Depth=1
                                        ; =>  This Inner Loop Header: Depth=2
	v_mov_b32_e32 v4, 1
	s_and_saveexec_b32 s1, s0
	s_cbranch_execz .LBB2_101
; %bb.105:                              ;   in Loop: Header=BB2_104 Depth=2
	global_load_dword v4, v[27:28], off offset:20 glc dlc
	s_waitcnt vmcnt(0)
	buffer_gl1_inv
	buffer_gl0_inv
	v_and_b32_e32 v4, 1, v4
	s_branch .LBB2_101
.LBB2_106:                              ;   in Loop: Header=BB2_35 Depth=1
	global_load_dwordx2 v[2:3], v[2:3], off
	s_and_saveexec_b32 s12, s0
	s_cbranch_execz .LBB2_34
; %bb.107:                              ;   in Loop: Header=BB2_35 Depth=1
	s_clause 0x2
	global_load_dwordx2 v[4:5], v7, s[2:3] offset:40
	global_load_dwordx2 v[14:15], v7, s[2:3] offset:24 glc dlc
	global_load_dwordx2 v[10:11], v7, s[2:3]
	s_waitcnt vmcnt(2)
	v_readfirstlane_b32 s14, v4
	v_readfirstlane_b32 s15, v5
	s_add_u32 s13, s14, 1
	s_addc_u32 s16, s15, 0
	s_add_u32 s0, s13, s10
	s_addc_u32 s1, s16, s11
	s_cmp_eq_u64 s[0:1], 0
	s_cselect_b32 s1, s16, s1
	s_cselect_b32 s0, s13, s0
	v_mov_b32_e32 v13, s1
	s_and_b64 s[10:11], s[0:1], s[14:15]
	v_mov_b32_e32 v12, s0
	s_mul_i32 s11, s11, 24
	s_mul_hi_u32 s13, s10, 24
	s_mul_i32 s10, s10, 24
	s_add_i32 s13, s13, s11
	s_waitcnt vmcnt(0)
	v_add_co_u32 v4, vcc_lo, v10, s10
	v_add_co_ci_u32_e64 v5, null, s13, v11, vcc_lo
	global_store_dwordx2 v[4:5], v[14:15], off
	s_waitcnt_vscnt null, 0x0
	global_atomic_cmpswap_x2 v[12:13], v7, v[12:15], s[2:3] offset:24 glc
	s_waitcnt vmcnt(0)
	v_cmp_ne_u64_e32 vcc_lo, v[12:13], v[14:15]
	s_and_b32 exec_lo, exec_lo, vcc_lo
	s_cbranch_execz .LBB2_34
; %bb.108:                              ;   in Loop: Header=BB2_35 Depth=1
	s_mov_b32 s10, 0
.LBB2_109:                              ;   Parent Loop BB2_35 Depth=1
                                        ; =>  This Inner Loop Header: Depth=2
	v_mov_b32_e32 v10, s0
	v_mov_b32_e32 v11, s1
	s_sleep 1
	global_store_dwordx2 v[4:5], v[12:13], off
	s_waitcnt_vscnt null, 0x0
	global_atomic_cmpswap_x2 v[10:11], v7, v[10:13], s[2:3] offset:24 glc
	s_waitcnt vmcnt(0)
	v_cmp_eq_u64_e32 vcc_lo, v[10:11], v[12:13]
	v_mov_b32_e32 v13, v11
	v_mov_b32_e32 v12, v10
	s_or_b32 s10, vcc_lo, s10
	s_andn2_b32 exec_lo, exec_lo, s10
	s_cbranch_execnz .LBB2_109
	s_branch .LBB2_34
.LBB2_110:
	s_branch .LBB2_139
.LBB2_111:
                                        ; implicit-def: $vgpr2_vgpr3
	s_cbranch_execz .LBB2_139
; %bb.112:
	v_readfirstlane_b32 s0, v31
	v_mov_b32_e32 v8, 0
	v_mov_b32_e32 v9, 0
	v_cmp_eq_u32_e64 s0, s0, v31
	s_and_saveexec_b32 s1, s0
	s_cbranch_execz .LBB2_118
; %bb.113:
	s_waitcnt vmcnt(0)
	v_mov_b32_e32 v2, 0
	s_mov_b32 s4, exec_lo
	global_load_dwordx2 v[5:6], v2, s[2:3] offset:24 glc dlc
	s_waitcnt vmcnt(0)
	buffer_gl1_inv
	buffer_gl0_inv
	s_clause 0x1
	global_load_dwordx2 v[3:4], v2, s[2:3] offset:40
	global_load_dwordx2 v[7:8], v2, s[2:3]
	s_waitcnt vmcnt(1)
	v_and_b32_e32 v4, v4, v6
	v_and_b32_e32 v3, v3, v5
	v_mul_lo_u32 v4, v4, 24
	v_mul_hi_u32 v9, v3, 24
	v_mul_lo_u32 v3, v3, 24
	v_add_nc_u32_e32 v4, v9, v4
	s_waitcnt vmcnt(0)
	v_add_co_u32 v3, vcc_lo, v7, v3
	v_add_co_ci_u32_e64 v4, null, v8, v4, vcc_lo
	global_load_dwordx2 v[3:4], v[3:4], off glc dlc
	s_waitcnt vmcnt(0)
	global_atomic_cmpswap_x2 v[8:9], v2, v[3:6], s[2:3] offset:24 glc
	s_waitcnt vmcnt(0)
	buffer_gl1_inv
	buffer_gl0_inv
	v_cmpx_ne_u64_e64 v[8:9], v[5:6]
	s_cbranch_execz .LBB2_117
; %bb.114:
	s_mov_b32 s5, 0
	.p2align	6
.LBB2_115:                              ; =>This Inner Loop Header: Depth=1
	s_sleep 1
	s_clause 0x1
	global_load_dwordx2 v[3:4], v2, s[2:3] offset:40
	global_load_dwordx2 v[10:11], v2, s[2:3]
	v_mov_b32_e32 v5, v8
	v_mov_b32_e32 v6, v9
	s_waitcnt vmcnt(1)
	v_and_b32_e32 v3, v3, v5
	v_and_b32_e32 v4, v4, v6
	s_waitcnt vmcnt(0)
	v_mad_u64_u32 v[7:8], null, v3, 24, v[10:11]
	v_mov_b32_e32 v3, v8
	v_mad_u64_u32 v[3:4], null, v4, 24, v[3:4]
	v_mov_b32_e32 v8, v3
	global_load_dwordx2 v[3:4], v[7:8], off glc dlc
	s_waitcnt vmcnt(0)
	global_atomic_cmpswap_x2 v[8:9], v2, v[3:6], s[2:3] offset:24 glc
	s_waitcnt vmcnt(0)
	buffer_gl1_inv
	buffer_gl0_inv
	v_cmp_eq_u64_e32 vcc_lo, v[8:9], v[5:6]
	s_or_b32 s5, vcc_lo, s5
	s_andn2_b32 exec_lo, exec_lo, s5
	s_cbranch_execnz .LBB2_115
; %bb.116:
	s_or_b32 exec_lo, exec_lo, s5
.LBB2_117:
	s_or_b32 exec_lo, exec_lo, s4
.LBB2_118:
	s_or_b32 exec_lo, exec_lo, s1
	s_waitcnt vmcnt(0)
	v_mov_b32_e32 v2, 0
	v_readfirstlane_b32 s5, v9
	v_readfirstlane_b32 s4, v8
	s_mov_b32 s1, exec_lo
	s_clause 0x1
	global_load_dwordx2 v[10:11], v2, s[2:3] offset:40
	global_load_dwordx4 v[4:7], v2, s[2:3]
	s_waitcnt vmcnt(1)
	v_readfirstlane_b32 s6, v10
	v_readfirstlane_b32 s7, v11
	s_and_b64 s[6:7], s[6:7], s[4:5]
	s_mul_i32 s8, s7, 24
	s_mul_hi_u32 s9, s6, 24
	s_mul_i32 s10, s6, 24
	s_add_i32 s9, s9, s8
	s_waitcnt vmcnt(0)
	v_add_co_u32 v8, vcc_lo, v4, s10
	v_add_co_ci_u32_e64 v9, null, s9, v5, vcc_lo
	s_and_saveexec_b32 s8, s0
	s_cbranch_execz .LBB2_120
; %bb.119:
	v_mov_b32_e32 v10, s1
	v_mov_b32_e32 v11, v2
	;; [unrolled: 1-line block ×4, first 2 shown]
	global_store_dwordx4 v[8:9], v[10:13], off offset:8
.LBB2_120:
	s_or_b32 exec_lo, exec_lo, s8
	s_lshl_b64 s[6:7], s[6:7], 12
	s_mov_b32 s8, 0
	v_add_co_u32 v6, vcc_lo, v6, s6
	v_add_co_ci_u32_e64 v7, null, s7, v7, vcc_lo
	s_mov_b32 s11, s8
	v_readfirstlane_b32 s6, v6
	v_add_co_u32 v6, vcc_lo, v6, v30
	s_mov_b32 s9, s8
	s_mov_b32 s10, s8
	v_and_or_b32 v0, 0xffffff1f, v0, 32
	v_mov_b32_e32 v3, v2
	v_readfirstlane_b32 s7, v7
	v_mov_b32_e32 v13, s11
	v_add_co_ci_u32_e64 v7, null, 0, v7, vcc_lo
	v_mov_b32_e32 v12, s10
	v_mov_b32_e32 v11, s9
	v_mov_b32_e32 v10, s8
	global_store_dwordx4 v30, v[0:3], s[6:7]
	global_store_dwordx4 v30, v[10:13], s[6:7] offset:16
	global_store_dwordx4 v30, v[10:13], s[6:7] offset:32
	;; [unrolled: 1-line block ×3, first 2 shown]
	s_and_saveexec_b32 s1, s0
	s_cbranch_execz .LBB2_128
; %bb.121:
	v_mov_b32_e32 v10, 0
	v_mov_b32_e32 v11, s4
	;; [unrolled: 1-line block ×3, first 2 shown]
	s_clause 0x1
	global_load_dwordx2 v[13:14], v10, s[2:3] offset:32 glc dlc
	global_load_dwordx2 v[0:1], v10, s[2:3] offset:40
	s_waitcnt vmcnt(0)
	v_readfirstlane_b32 s6, v0
	v_readfirstlane_b32 s7, v1
	s_and_b64 s[6:7], s[6:7], s[4:5]
	s_mul_i32 s7, s7, 24
	s_mul_hi_u32 s8, s6, 24
	s_mul_i32 s6, s6, 24
	s_add_i32 s8, s8, s7
	v_add_co_u32 v4, vcc_lo, v4, s6
	v_add_co_ci_u32_e64 v5, null, s8, v5, vcc_lo
	s_mov_b32 s6, exec_lo
	global_store_dwordx2 v[4:5], v[13:14], off
	s_waitcnt_vscnt null, 0x0
	global_atomic_cmpswap_x2 v[2:3], v10, v[11:14], s[2:3] offset:32 glc
	s_waitcnt vmcnt(0)
	v_cmpx_ne_u64_e64 v[2:3], v[13:14]
	s_cbranch_execz .LBB2_124
; %bb.122:
	s_mov_b32 s7, 0
.LBB2_123:                              ; =>This Inner Loop Header: Depth=1
	v_mov_b32_e32 v0, s4
	v_mov_b32_e32 v1, s5
	s_sleep 1
	global_store_dwordx2 v[4:5], v[2:3], off
	s_waitcnt_vscnt null, 0x0
	global_atomic_cmpswap_x2 v[0:1], v10, v[0:3], s[2:3] offset:32 glc
	s_waitcnt vmcnt(0)
	v_cmp_eq_u64_e32 vcc_lo, v[0:1], v[2:3]
	v_mov_b32_e32 v3, v1
	v_mov_b32_e32 v2, v0
	s_or_b32 s7, vcc_lo, s7
	s_andn2_b32 exec_lo, exec_lo, s7
	s_cbranch_execnz .LBB2_123
.LBB2_124:
	s_or_b32 exec_lo, exec_lo, s6
	v_mov_b32_e32 v3, 0
	s_mov_b32 s7, exec_lo
	s_mov_b32 s6, exec_lo
	v_mbcnt_lo_u32_b32 v2, s7, 0
	global_load_dwordx2 v[0:1], v3, s[2:3] offset:16
	v_cmpx_eq_u32_e32 0, v2
	s_cbranch_execz .LBB2_126
; %bb.125:
	s_bcnt1_i32_b32 s7, s7
	v_mov_b32_e32 v2, s7
	s_waitcnt vmcnt(0)
	global_atomic_add_x2 v[0:1], v[2:3], off offset:8
.LBB2_126:
	s_or_b32 exec_lo, exec_lo, s6
	s_waitcnt vmcnt(0)
	global_load_dwordx2 v[2:3], v[0:1], off offset:16
	s_waitcnt vmcnt(0)
	v_cmp_eq_u64_e32 vcc_lo, 0, v[2:3]
	s_cbranch_vccnz .LBB2_128
; %bb.127:
	global_load_dword v0, v[0:1], off offset:24
	v_mov_b32_e32 v1, 0
	s_waitcnt vmcnt(0)
	v_readfirstlane_b32 s6, v0
	s_waitcnt_vscnt null, 0x0
	global_store_dwordx2 v[2:3], v[0:1], off
	s_and_b32 m0, s6, 0x7fffff
	s_sendmsg sendmsg(MSG_INTERRUPT)
.LBB2_128:
	s_or_b32 exec_lo, exec_lo, s1
	s_branch .LBB2_132
	.p2align	6
.LBB2_129:                              ;   in Loop: Header=BB2_132 Depth=1
	s_or_b32 exec_lo, exec_lo, s1
	v_readfirstlane_b32 s1, v0
	s_cmp_eq_u32 s1, 0
	s_cbranch_scc1 .LBB2_131
; %bb.130:                              ;   in Loop: Header=BB2_132 Depth=1
	s_sleep 1
	s_cbranch_execnz .LBB2_132
	s_branch .LBB2_134
	.p2align	6
.LBB2_131:
	s_branch .LBB2_134
.LBB2_132:                              ; =>This Inner Loop Header: Depth=1
	v_mov_b32_e32 v0, 1
	s_and_saveexec_b32 s1, s0
	s_cbranch_execz .LBB2_129
; %bb.133:                              ;   in Loop: Header=BB2_132 Depth=1
	global_load_dword v0, v[8:9], off offset:20 glc dlc
	s_waitcnt vmcnt(0)
	buffer_gl1_inv
	buffer_gl0_inv
	v_and_b32_e32 v0, 1, v0
	s_branch .LBB2_129
.LBB2_134:
	global_load_dwordx2 v[2:3], v[6:7], off
	s_and_saveexec_b32 s6, s0
	s_cbranch_execz .LBB2_138
; %bb.135:
	v_mov_b32_e32 v8, 0
	s_clause 0x2
	global_load_dwordx2 v[0:1], v8, s[2:3] offset:40
	global_load_dwordx2 v[11:12], v8, s[2:3] offset:24 glc dlc
	global_load_dwordx2 v[4:5], v8, s[2:3]
	s_waitcnt vmcnt(2)
	v_readfirstlane_b32 s8, v0
	v_readfirstlane_b32 s9, v1
	s_add_u32 s7, s8, 1
	s_addc_u32 s10, s9, 0
	s_add_u32 s0, s7, s4
	s_addc_u32 s1, s10, s5
	s_cmp_eq_u64 s[0:1], 0
	s_cselect_b32 s1, s10, s1
	s_cselect_b32 s0, s7, s0
	v_mov_b32_e32 v10, s1
	s_and_b64 s[4:5], s[0:1], s[8:9]
	v_mov_b32_e32 v9, s0
	s_mul_i32 s5, s5, 24
	s_mul_hi_u32 s7, s4, 24
	s_mul_i32 s4, s4, 24
	s_add_i32 s7, s7, s5
	s_waitcnt vmcnt(0)
	v_add_co_u32 v0, vcc_lo, v4, s4
	v_add_co_ci_u32_e64 v1, null, s7, v5, vcc_lo
	global_store_dwordx2 v[0:1], v[11:12], off
	s_waitcnt_vscnt null, 0x0
	global_atomic_cmpswap_x2 v[6:7], v8, v[9:12], s[2:3] offset:24 glc
	s_waitcnt vmcnt(0)
	v_cmp_ne_u64_e32 vcc_lo, v[6:7], v[11:12]
	s_and_b32 exec_lo, exec_lo, vcc_lo
	s_cbranch_execz .LBB2_138
; %bb.136:
	s_mov_b32 s4, 0
.LBB2_137:                              ; =>This Inner Loop Header: Depth=1
	v_mov_b32_e32 v4, s0
	v_mov_b32_e32 v5, s1
	s_sleep 1
	global_store_dwordx2 v[0:1], v[6:7], off
	s_waitcnt_vscnt null, 0x0
	global_atomic_cmpswap_x2 v[4:5], v8, v[4:7], s[2:3] offset:24 glc
	s_waitcnt vmcnt(0)
	v_cmp_eq_u64_e32 vcc_lo, v[4:5], v[6:7]
	v_mov_b32_e32 v7, v5
	v_mov_b32_e32 v6, v4
	s_or_b32 s4, vcc_lo, s4
	s_andn2_b32 exec_lo, exec_lo, s4
	s_cbranch_execnz .LBB2_137
.LBB2_138:
	s_or_b32 exec_lo, exec_lo, s6
.LBB2_139:
	v_readfirstlane_b32 s0, v31
	s_waitcnt vmcnt(0)
	v_mov_b32_e32 v0, 0
	v_mov_b32_e32 v1, 0
	v_cmp_eq_u32_e64 s0, s0, v31
	s_and_saveexec_b32 s1, s0
	s_cbranch_execz .LBB2_145
; %bb.140:
	v_mov_b32_e32 v4, 0
	s_mov_b32 s4, exec_lo
	global_load_dwordx2 v[7:8], v4, s[2:3] offset:24 glc dlc
	s_waitcnt vmcnt(0)
	buffer_gl1_inv
	buffer_gl0_inv
	s_clause 0x1
	global_load_dwordx2 v[0:1], v4, s[2:3] offset:40
	global_load_dwordx2 v[5:6], v4, s[2:3]
	s_waitcnt vmcnt(1)
	v_and_b32_e32 v1, v1, v8
	v_and_b32_e32 v0, v0, v7
	v_mul_lo_u32 v1, v1, 24
	v_mul_hi_u32 v9, v0, 24
	v_mul_lo_u32 v0, v0, 24
	v_add_nc_u32_e32 v1, v9, v1
	s_waitcnt vmcnt(0)
	v_add_co_u32 v0, vcc_lo, v5, v0
	v_add_co_ci_u32_e64 v1, null, v6, v1, vcc_lo
	global_load_dwordx2 v[5:6], v[0:1], off glc dlc
	s_waitcnt vmcnt(0)
	global_atomic_cmpswap_x2 v[0:1], v4, v[5:8], s[2:3] offset:24 glc
	s_waitcnt vmcnt(0)
	buffer_gl1_inv
	buffer_gl0_inv
	v_cmpx_ne_u64_e64 v[0:1], v[7:8]
	s_cbranch_execz .LBB2_144
; %bb.141:
	s_mov_b32 s5, 0
	.p2align	6
.LBB2_142:                              ; =>This Inner Loop Header: Depth=1
	s_sleep 1
	s_clause 0x1
	global_load_dwordx2 v[5:6], v4, s[2:3] offset:40
	global_load_dwordx2 v[9:10], v4, s[2:3]
	v_mov_b32_e32 v8, v1
	v_mov_b32_e32 v7, v0
	s_waitcnt vmcnt(1)
	v_and_b32_e32 v0, v5, v7
	v_and_b32_e32 v5, v6, v8
	s_waitcnt vmcnt(0)
	v_mad_u64_u32 v[0:1], null, v0, 24, v[9:10]
	v_mad_u64_u32 v[5:6], null, v5, 24, v[1:2]
	v_mov_b32_e32 v1, v5
	global_load_dwordx2 v[5:6], v[0:1], off glc dlc
	s_waitcnt vmcnt(0)
	global_atomic_cmpswap_x2 v[0:1], v4, v[5:8], s[2:3] offset:24 glc
	s_waitcnt vmcnt(0)
	buffer_gl1_inv
	buffer_gl0_inv
	v_cmp_eq_u64_e32 vcc_lo, v[0:1], v[7:8]
	s_or_b32 s5, vcc_lo, s5
	s_andn2_b32 exec_lo, exec_lo, s5
	s_cbranch_execnz .LBB2_142
; %bb.143:
	s_or_b32 exec_lo, exec_lo, s5
.LBB2_144:
	s_or_b32 exec_lo, exec_lo, s4
.LBB2_145:
	s_or_b32 exec_lo, exec_lo, s1
	v_mov_b32_e32 v5, 0
	v_readfirstlane_b32 s5, v1
	v_readfirstlane_b32 s4, v0
	s_mov_b32 s1, exec_lo
	s_clause 0x1
	global_load_dwordx2 v[10:11], v5, s[2:3] offset:40
	global_load_dwordx4 v[6:9], v5, s[2:3]
	s_waitcnt vmcnt(1)
	v_readfirstlane_b32 s6, v10
	v_readfirstlane_b32 s7, v11
	s_and_b64 s[6:7], s[6:7], s[4:5]
	s_mul_i32 s8, s7, 24
	s_mul_hi_u32 s9, s6, 24
	s_mul_i32 s10, s6, 24
	s_add_i32 s9, s9, s8
	s_waitcnt vmcnt(0)
	v_add_co_u32 v10, vcc_lo, v6, s10
	v_add_co_ci_u32_e64 v11, null, s9, v7, vcc_lo
	s_and_saveexec_b32 s8, s0
	s_cbranch_execz .LBB2_147
; %bb.146:
	v_mov_b32_e32 v4, s1
	v_mov_b32_e32 v13, v5
	;; [unrolled: 1-line block ×5, first 2 shown]
	global_store_dwordx4 v[10:11], v[12:15], off offset:8
.LBB2_147:
	s_or_b32 exec_lo, exec_lo, s8
	s_lshl_b64 s[6:7], s[6:7], 12
	s_mov_b32 s8, 0
	v_add_co_u32 v0, vcc_lo, v8, s6
	v_add_co_ci_u32_e64 v1, null, s7, v9, vcc_lo
	s_mov_b32 s11, s8
	v_add_co_u32 v8, vcc_lo, v0, v30
	s_mov_b32 s9, s8
	s_mov_b32 s10, s8
	v_and_or_b32 v2, 0xffffff1f, v2, 32
	v_mov_b32_e32 v4, v26
	v_readfirstlane_b32 s6, v0
	v_readfirstlane_b32 s7, v1
	v_mov_b32_e32 v15, s11
	v_add_co_ci_u32_e64 v9, null, 0, v1, vcc_lo
	v_mov_b32_e32 v14, s10
	v_mov_b32_e32 v13, s9
	;; [unrolled: 1-line block ×3, first 2 shown]
	global_store_dwordx4 v30, v[2:5], s[6:7]
	global_store_dwordx4 v30, v[12:15], s[6:7] offset:16
	global_store_dwordx4 v30, v[12:15], s[6:7] offset:32
	;; [unrolled: 1-line block ×3, first 2 shown]
	s_and_saveexec_b32 s1, s0
	s_cbranch_execz .LBB2_155
; %bb.148:
	v_mov_b32_e32 v12, 0
	v_mov_b32_e32 v13, s4
	v_mov_b32_e32 v14, s5
	s_clause 0x1
	global_load_dwordx2 v[15:16], v12, s[2:3] offset:32 glc dlc
	global_load_dwordx2 v[0:1], v12, s[2:3] offset:40
	s_waitcnt vmcnt(0)
	v_readfirstlane_b32 s6, v0
	v_readfirstlane_b32 s7, v1
	s_and_b64 s[6:7], s[6:7], s[4:5]
	s_mul_i32 s7, s7, 24
	s_mul_hi_u32 s8, s6, 24
	s_mul_i32 s6, s6, 24
	s_add_i32 s8, s8, s7
	v_add_co_u32 v4, vcc_lo, v6, s6
	v_add_co_ci_u32_e64 v5, null, s8, v7, vcc_lo
	s_mov_b32 s6, exec_lo
	global_store_dwordx2 v[4:5], v[15:16], off
	s_waitcnt_vscnt null, 0x0
	global_atomic_cmpswap_x2 v[2:3], v12, v[13:16], s[2:3] offset:32 glc
	s_waitcnt vmcnt(0)
	v_cmpx_ne_u64_e64 v[2:3], v[15:16]
	s_cbranch_execz .LBB2_151
; %bb.149:
	s_mov_b32 s7, 0
.LBB2_150:                              ; =>This Inner Loop Header: Depth=1
	v_mov_b32_e32 v0, s4
	v_mov_b32_e32 v1, s5
	s_sleep 1
	global_store_dwordx2 v[4:5], v[2:3], off
	s_waitcnt_vscnt null, 0x0
	global_atomic_cmpswap_x2 v[0:1], v12, v[0:3], s[2:3] offset:32 glc
	s_waitcnt vmcnt(0)
	v_cmp_eq_u64_e32 vcc_lo, v[0:1], v[2:3]
	v_mov_b32_e32 v3, v1
	v_mov_b32_e32 v2, v0
	s_or_b32 s7, vcc_lo, s7
	s_andn2_b32 exec_lo, exec_lo, s7
	s_cbranch_execnz .LBB2_150
.LBB2_151:
	s_or_b32 exec_lo, exec_lo, s6
	v_mov_b32_e32 v3, 0
	s_mov_b32 s7, exec_lo
	s_mov_b32 s6, exec_lo
	v_mbcnt_lo_u32_b32 v2, s7, 0
	global_load_dwordx2 v[0:1], v3, s[2:3] offset:16
	v_cmpx_eq_u32_e32 0, v2
	s_cbranch_execz .LBB2_153
; %bb.152:
	s_bcnt1_i32_b32 s7, s7
	v_mov_b32_e32 v2, s7
	s_waitcnt vmcnt(0)
	global_atomic_add_x2 v[0:1], v[2:3], off offset:8
.LBB2_153:
	s_or_b32 exec_lo, exec_lo, s6
	s_waitcnt vmcnt(0)
	global_load_dwordx2 v[2:3], v[0:1], off offset:16
	s_waitcnt vmcnt(0)
	v_cmp_eq_u64_e32 vcc_lo, 0, v[2:3]
	s_cbranch_vccnz .LBB2_155
; %bb.154:
	global_load_dword v0, v[0:1], off offset:24
	v_mov_b32_e32 v1, 0
	s_waitcnt vmcnt(0)
	v_readfirstlane_b32 s6, v0
	s_waitcnt_vscnt null, 0x0
	global_store_dwordx2 v[2:3], v[0:1], off
	s_and_b32 m0, s6, 0x7fffff
	s_sendmsg sendmsg(MSG_INTERRUPT)
.LBB2_155:
	s_or_b32 exec_lo, exec_lo, s1
	s_branch .LBB2_159
	.p2align	6
.LBB2_156:                              ;   in Loop: Header=BB2_159 Depth=1
	s_or_b32 exec_lo, exec_lo, s1
	v_readfirstlane_b32 s1, v0
	s_cmp_eq_u32 s1, 0
	s_cbranch_scc1 .LBB2_158
; %bb.157:                              ;   in Loop: Header=BB2_159 Depth=1
	s_sleep 1
	s_cbranch_execnz .LBB2_159
	s_branch .LBB2_161
	.p2align	6
.LBB2_158:
	s_branch .LBB2_161
.LBB2_159:                              ; =>This Inner Loop Header: Depth=1
	v_mov_b32_e32 v0, 1
	s_and_saveexec_b32 s1, s0
	s_cbranch_execz .LBB2_156
; %bb.160:                              ;   in Loop: Header=BB2_159 Depth=1
	global_load_dword v0, v[10:11], off offset:20 glc dlc
	s_waitcnt vmcnt(0)
	buffer_gl1_inv
	buffer_gl0_inv
	v_and_b32_e32 v0, 1, v0
	s_branch .LBB2_156
.LBB2_161:
	global_load_dwordx2 v[0:1], v[8:9], off
	s_and_saveexec_b32 s6, s0
	s_cbranch_execz .LBB2_165
; %bb.162:
	v_mov_b32_e32 v8, 0
	s_clause 0x2
	global_load_dwordx2 v[2:3], v8, s[2:3] offset:40
	global_load_dwordx2 v[11:12], v8, s[2:3] offset:24 glc dlc
	global_load_dwordx2 v[4:5], v8, s[2:3]
	s_waitcnt vmcnt(2)
	v_readfirstlane_b32 s8, v2
	v_readfirstlane_b32 s9, v3
	s_add_u32 s7, s8, 1
	s_addc_u32 s10, s9, 0
	s_add_u32 s0, s7, s4
	s_addc_u32 s1, s10, s5
	s_cmp_eq_u64 s[0:1], 0
	s_cselect_b32 s1, s10, s1
	s_cselect_b32 s0, s7, s0
	v_mov_b32_e32 v10, s1
	s_and_b64 s[4:5], s[0:1], s[8:9]
	v_mov_b32_e32 v9, s0
	s_mul_i32 s5, s5, 24
	s_mul_hi_u32 s7, s4, 24
	s_mul_i32 s4, s4, 24
	s_add_i32 s7, s7, s5
	s_waitcnt vmcnt(0)
	v_add_co_u32 v6, vcc_lo, v4, s4
	v_add_co_ci_u32_e64 v7, null, s7, v5, vcc_lo
	global_store_dwordx2 v[6:7], v[11:12], off
	s_waitcnt_vscnt null, 0x0
	global_atomic_cmpswap_x2 v[4:5], v8, v[9:12], s[2:3] offset:24 glc
	s_waitcnt vmcnt(0)
	v_cmp_ne_u64_e32 vcc_lo, v[4:5], v[11:12]
	s_and_b32 exec_lo, exec_lo, vcc_lo
	s_cbranch_execz .LBB2_165
; %bb.163:
	s_mov_b32 s4, 0
.LBB2_164:                              ; =>This Inner Loop Header: Depth=1
	v_mov_b32_e32 v2, s0
	v_mov_b32_e32 v3, s1
	s_sleep 1
	global_store_dwordx2 v[6:7], v[4:5], off
	s_waitcnt_vscnt null, 0x0
	global_atomic_cmpswap_x2 v[2:3], v8, v[2:5], s[2:3] offset:24 glc
	s_waitcnt vmcnt(0)
	v_cmp_eq_u64_e32 vcc_lo, v[2:3], v[4:5]
	v_mov_b32_e32 v5, v3
	v_mov_b32_e32 v4, v2
	s_or_b32 s4, vcc_lo, s4
	s_andn2_b32 exec_lo, exec_lo, s4
	s_cbranch_execnz .LBB2_164
.LBB2_165:
	s_or_b32 exec_lo, exec_lo, s6
	v_readfirstlane_b32 s0, v31
	v_mov_b32_e32 v2, 0
	v_mov_b32_e32 v3, 0
	v_cmp_eq_u32_e64 s0, s0, v31
	s_and_saveexec_b32 s1, s0
	s_cbranch_execz .LBB2_171
; %bb.166:
	v_mov_b32_e32 v4, 0
	s_mov_b32 s4, exec_lo
	global_load_dwordx2 v[7:8], v4, s[2:3] offset:24 glc dlc
	s_waitcnt vmcnt(0)
	buffer_gl1_inv
	buffer_gl0_inv
	s_clause 0x1
	global_load_dwordx2 v[2:3], v4, s[2:3] offset:40
	global_load_dwordx2 v[5:6], v4, s[2:3]
	s_waitcnt vmcnt(1)
	v_and_b32_e32 v3, v3, v8
	v_and_b32_e32 v2, v2, v7
	v_mul_lo_u32 v3, v3, 24
	v_mul_hi_u32 v9, v2, 24
	v_mul_lo_u32 v2, v2, 24
	v_add_nc_u32_e32 v3, v9, v3
	s_waitcnt vmcnt(0)
	v_add_co_u32 v2, vcc_lo, v5, v2
	v_add_co_ci_u32_e64 v3, null, v6, v3, vcc_lo
	global_load_dwordx2 v[5:6], v[2:3], off glc dlc
	s_waitcnt vmcnt(0)
	global_atomic_cmpswap_x2 v[2:3], v4, v[5:8], s[2:3] offset:24 glc
	s_waitcnt vmcnt(0)
	buffer_gl1_inv
	buffer_gl0_inv
	v_cmpx_ne_u64_e64 v[2:3], v[7:8]
	s_cbranch_execz .LBB2_170
; %bb.167:
	s_mov_b32 s5, 0
	.p2align	6
.LBB2_168:                              ; =>This Inner Loop Header: Depth=1
	s_sleep 1
	s_clause 0x1
	global_load_dwordx2 v[5:6], v4, s[2:3] offset:40
	global_load_dwordx2 v[9:10], v4, s[2:3]
	v_mov_b32_e32 v8, v3
	v_mov_b32_e32 v7, v2
	s_waitcnt vmcnt(1)
	v_and_b32_e32 v2, v5, v7
	v_and_b32_e32 v5, v6, v8
	s_waitcnt vmcnt(0)
	v_mad_u64_u32 v[2:3], null, v2, 24, v[9:10]
	v_mad_u64_u32 v[5:6], null, v5, 24, v[3:4]
	v_mov_b32_e32 v3, v5
	global_load_dwordx2 v[5:6], v[2:3], off glc dlc
	s_waitcnt vmcnt(0)
	global_atomic_cmpswap_x2 v[2:3], v4, v[5:8], s[2:3] offset:24 glc
	s_waitcnt vmcnt(0)
	buffer_gl1_inv
	buffer_gl0_inv
	v_cmp_eq_u64_e32 vcc_lo, v[2:3], v[7:8]
	s_or_b32 s5, vcc_lo, s5
	s_andn2_b32 exec_lo, exec_lo, s5
	s_cbranch_execnz .LBB2_168
; %bb.169:
	s_or_b32 exec_lo, exec_lo, s5
.LBB2_170:
	s_or_b32 exec_lo, exec_lo, s4
.LBB2_171:
	s_or_b32 exec_lo, exec_lo, s1
	v_mov_b32_e32 v9, 0
	v_readfirstlane_b32 s5, v3
	v_readfirstlane_b32 s4, v2
	s_mov_b32 s1, exec_lo
	s_clause 0x1
	global_load_dwordx2 v[10:11], v9, s[2:3] offset:40
	global_load_dwordx4 v[4:7], v9, s[2:3]
	s_waitcnt vmcnt(1)
	v_readfirstlane_b32 s6, v10
	v_readfirstlane_b32 s7, v11
	s_and_b64 s[6:7], s[6:7], s[4:5]
	s_mul_i32 s8, s7, 24
	s_mul_hi_u32 s9, s6, 24
	s_mul_i32 s10, s6, 24
	s_add_i32 s9, s9, s8
	s_waitcnt vmcnt(0)
	v_add_co_u32 v12, vcc_lo, v4, s10
	v_add_co_ci_u32_e64 v13, null, s9, v5, vcc_lo
	s_and_saveexec_b32 s8, s0
	s_cbranch_execz .LBB2_173
; %bb.172:
	v_mov_b32_e32 v8, s1
	v_mov_b32_e32 v10, 2
	;; [unrolled: 1-line block ×3, first 2 shown]
	global_store_dwordx4 v[12:13], v[8:11], off offset:8
.LBB2_173:
	s_or_b32 exec_lo, exec_lo, s8
	v_cvt_f64_f32_e32 v[2:3], v33
	s_lshl_b64 s[6:7], s[6:7], 12
	s_mov_b32 s8, 0
	v_add_co_u32 v6, vcc_lo, v6, s6
	v_add_co_ci_u32_e64 v7, null, s7, v7, vcc_lo
	s_mov_b32 s9, s8
	s_mov_b32 s10, s8
	;; [unrolled: 1-line block ×3, first 2 shown]
	v_readfirstlane_b32 s6, v6
	v_add_co_u32 v6, vcc_lo, v6, v30
	v_mov_b32_e32 v8, s8
	v_mov_b32_e32 v9, s9
	;; [unrolled: 1-line block ×4, first 2 shown]
	v_readfirstlane_b32 s7, v7
	v_add_co_ci_u32_e64 v7, null, 0, v7, vcc_lo
	v_and_or_b32 v0, 0xffffff1f, v0, 32
	global_store_dwordx4 v30, v[8:11], s[6:7] offset:16
	global_store_dwordx4 v30, v[8:11], s[6:7] offset:32
	global_store_dwordx4 v30, v[0:3], s[6:7]
	global_store_dwordx4 v30, v[8:11], s[6:7] offset:48
	s_and_saveexec_b32 s1, s0
	s_cbranch_execz .LBB2_181
; %bb.174:
	v_mov_b32_e32 v8, 0
	v_mov_b32_e32 v14, s4
	;; [unrolled: 1-line block ×3, first 2 shown]
	s_clause 0x1
	global_load_dwordx2 v[16:17], v8, s[2:3] offset:32 glc dlc
	global_load_dwordx2 v[0:1], v8, s[2:3] offset:40
	s_waitcnt vmcnt(0)
	v_readfirstlane_b32 s6, v0
	v_readfirstlane_b32 s7, v1
	s_and_b64 s[6:7], s[6:7], s[4:5]
	s_mul_i32 s7, s7, 24
	s_mul_hi_u32 s8, s6, 24
	s_mul_i32 s6, s6, 24
	s_add_i32 s8, s8, s7
	v_add_co_u32 v4, vcc_lo, v4, s6
	v_add_co_ci_u32_e64 v5, null, s8, v5, vcc_lo
	s_mov_b32 s6, exec_lo
	global_store_dwordx2 v[4:5], v[16:17], off
	s_waitcnt_vscnt null, 0x0
	global_atomic_cmpswap_x2 v[2:3], v8, v[14:17], s[2:3] offset:32 glc
	s_waitcnt vmcnt(0)
	v_cmpx_ne_u64_e64 v[2:3], v[16:17]
	s_cbranch_execz .LBB2_177
; %bb.175:
	s_mov_b32 s7, 0
.LBB2_176:                              ; =>This Inner Loop Header: Depth=1
	v_mov_b32_e32 v0, s4
	v_mov_b32_e32 v1, s5
	s_sleep 1
	global_store_dwordx2 v[4:5], v[2:3], off
	s_waitcnt_vscnt null, 0x0
	global_atomic_cmpswap_x2 v[0:1], v8, v[0:3], s[2:3] offset:32 glc
	s_waitcnt vmcnt(0)
	v_cmp_eq_u64_e32 vcc_lo, v[0:1], v[2:3]
	v_mov_b32_e32 v3, v1
	v_mov_b32_e32 v2, v0
	s_or_b32 s7, vcc_lo, s7
	s_andn2_b32 exec_lo, exec_lo, s7
	s_cbranch_execnz .LBB2_176
.LBB2_177:
	s_or_b32 exec_lo, exec_lo, s6
	v_mov_b32_e32 v3, 0
	s_mov_b32 s7, exec_lo
	s_mov_b32 s6, exec_lo
	v_mbcnt_lo_u32_b32 v2, s7, 0
	global_load_dwordx2 v[0:1], v3, s[2:3] offset:16
	v_cmpx_eq_u32_e32 0, v2
	s_cbranch_execz .LBB2_179
; %bb.178:
	s_bcnt1_i32_b32 s7, s7
	v_mov_b32_e32 v2, s7
	s_waitcnt vmcnt(0)
	global_atomic_add_x2 v[0:1], v[2:3], off offset:8
.LBB2_179:
	s_or_b32 exec_lo, exec_lo, s6
	s_waitcnt vmcnt(0)
	global_load_dwordx2 v[2:3], v[0:1], off offset:16
	s_waitcnt vmcnt(0)
	v_cmp_eq_u64_e32 vcc_lo, 0, v[2:3]
	s_cbranch_vccnz .LBB2_181
; %bb.180:
	global_load_dword v0, v[0:1], off offset:24
	v_mov_b32_e32 v1, 0
	s_waitcnt vmcnt(0)
	v_readfirstlane_b32 s6, v0
	s_waitcnt_vscnt null, 0x0
	global_store_dwordx2 v[2:3], v[0:1], off
	s_and_b32 m0, s6, 0x7fffff
	s_sendmsg sendmsg(MSG_INTERRUPT)
.LBB2_181:
	s_or_b32 exec_lo, exec_lo, s1
	s_branch .LBB2_185
	.p2align	6
.LBB2_182:                              ;   in Loop: Header=BB2_185 Depth=1
	s_or_b32 exec_lo, exec_lo, s1
	v_readfirstlane_b32 s1, v0
	s_cmp_eq_u32 s1, 0
	s_cbranch_scc1 .LBB2_184
; %bb.183:                              ;   in Loop: Header=BB2_185 Depth=1
	s_sleep 1
	s_cbranch_execnz .LBB2_185
	s_branch .LBB2_187
	.p2align	6
.LBB2_184:
	s_branch .LBB2_187
.LBB2_185:                              ; =>This Inner Loop Header: Depth=1
	v_mov_b32_e32 v0, 1
	s_and_saveexec_b32 s1, s0
	s_cbranch_execz .LBB2_182
; %bb.186:                              ;   in Loop: Header=BB2_185 Depth=1
	global_load_dword v0, v[12:13], off offset:20 glc dlc
	s_waitcnt vmcnt(0)
	buffer_gl1_inv
	buffer_gl0_inv
	v_and_b32_e32 v0, 1, v0
	s_branch .LBB2_182
.LBB2_187:
	global_load_dwordx2 v[0:1], v[6:7], off
	s_and_saveexec_b32 s6, s0
	s_cbranch_execz .LBB2_191
; %bb.188:
	v_mov_b32_e32 v8, 0
	s_clause 0x2
	global_load_dwordx2 v[2:3], v8, s[2:3] offset:40
	global_load_dwordx2 v[11:12], v8, s[2:3] offset:24 glc dlc
	global_load_dwordx2 v[4:5], v8, s[2:3]
	s_waitcnt vmcnt(2)
	v_readfirstlane_b32 s8, v2
	v_readfirstlane_b32 s9, v3
	s_add_u32 s7, s8, 1
	s_addc_u32 s10, s9, 0
	s_add_u32 s0, s7, s4
	s_addc_u32 s1, s10, s5
	s_cmp_eq_u64 s[0:1], 0
	s_cselect_b32 s1, s10, s1
	s_cselect_b32 s0, s7, s0
	v_mov_b32_e32 v10, s1
	s_and_b64 s[4:5], s[0:1], s[8:9]
	v_mov_b32_e32 v9, s0
	s_mul_i32 s5, s5, 24
	s_mul_hi_u32 s7, s4, 24
	s_mul_i32 s4, s4, 24
	s_add_i32 s7, s7, s5
	s_waitcnt vmcnt(0)
	v_add_co_u32 v6, vcc_lo, v4, s4
	v_add_co_ci_u32_e64 v7, null, s7, v5, vcc_lo
	global_store_dwordx2 v[6:7], v[11:12], off
	s_waitcnt_vscnt null, 0x0
	global_atomic_cmpswap_x2 v[4:5], v8, v[9:12], s[2:3] offset:24 glc
	s_waitcnt vmcnt(0)
	v_cmp_ne_u64_e32 vcc_lo, v[4:5], v[11:12]
	s_and_b32 exec_lo, exec_lo, vcc_lo
	s_cbranch_execz .LBB2_191
; %bb.189:
	s_mov_b32 s4, 0
.LBB2_190:                              ; =>This Inner Loop Header: Depth=1
	v_mov_b32_e32 v2, s0
	v_mov_b32_e32 v3, s1
	s_sleep 1
	global_store_dwordx2 v[6:7], v[4:5], off
	s_waitcnt_vscnt null, 0x0
	global_atomic_cmpswap_x2 v[2:3], v8, v[2:5], s[2:3] offset:24 glc
	s_waitcnt vmcnt(0)
	v_cmp_eq_u64_e32 vcc_lo, v[2:3], v[4:5]
	v_mov_b32_e32 v5, v3
	v_mov_b32_e32 v4, v2
	s_or_b32 s4, vcc_lo, s4
	s_andn2_b32 exec_lo, exec_lo, s4
	s_cbranch_execnz .LBB2_190
.LBB2_191:
	s_or_b32 exec_lo, exec_lo, s6
	v_readfirstlane_b32 s0, v31
	v_mov_b32_e32 v2, 0
	v_mov_b32_e32 v3, 0
	v_cmp_eq_u32_e64 s0, s0, v31
	s_and_saveexec_b32 s1, s0
	s_cbranch_execz .LBB2_197
; %bb.192:
	v_mov_b32_e32 v4, 0
	s_mov_b32 s4, exec_lo
	global_load_dwordx2 v[7:8], v4, s[2:3] offset:24 glc dlc
	s_waitcnt vmcnt(0)
	buffer_gl1_inv
	buffer_gl0_inv
	s_clause 0x1
	global_load_dwordx2 v[2:3], v4, s[2:3] offset:40
	global_load_dwordx2 v[5:6], v4, s[2:3]
	s_waitcnt vmcnt(1)
	v_and_b32_e32 v3, v3, v8
	v_and_b32_e32 v2, v2, v7
	v_mul_lo_u32 v3, v3, 24
	v_mul_hi_u32 v9, v2, 24
	v_mul_lo_u32 v2, v2, 24
	v_add_nc_u32_e32 v3, v9, v3
	s_waitcnt vmcnt(0)
	v_add_co_u32 v2, vcc_lo, v5, v2
	v_add_co_ci_u32_e64 v3, null, v6, v3, vcc_lo
	global_load_dwordx2 v[5:6], v[2:3], off glc dlc
	s_waitcnt vmcnt(0)
	global_atomic_cmpswap_x2 v[2:3], v4, v[5:8], s[2:3] offset:24 glc
	s_waitcnt vmcnt(0)
	buffer_gl1_inv
	buffer_gl0_inv
	v_cmpx_ne_u64_e64 v[2:3], v[7:8]
	s_cbranch_execz .LBB2_196
; %bb.193:
	s_mov_b32 s5, 0
	.p2align	6
.LBB2_194:                              ; =>This Inner Loop Header: Depth=1
	s_sleep 1
	s_clause 0x1
	global_load_dwordx2 v[5:6], v4, s[2:3] offset:40
	global_load_dwordx2 v[9:10], v4, s[2:3]
	v_mov_b32_e32 v8, v3
	v_mov_b32_e32 v7, v2
	s_waitcnt vmcnt(1)
	v_and_b32_e32 v2, v5, v7
	v_and_b32_e32 v5, v6, v8
	s_waitcnt vmcnt(0)
	v_mad_u64_u32 v[2:3], null, v2, 24, v[9:10]
	v_mad_u64_u32 v[5:6], null, v5, 24, v[3:4]
	v_mov_b32_e32 v3, v5
	global_load_dwordx2 v[5:6], v[2:3], off glc dlc
	s_waitcnt vmcnt(0)
	global_atomic_cmpswap_x2 v[2:3], v4, v[5:8], s[2:3] offset:24 glc
	s_waitcnt vmcnt(0)
	buffer_gl1_inv
	buffer_gl0_inv
	v_cmp_eq_u64_e32 vcc_lo, v[2:3], v[7:8]
	s_or_b32 s5, vcc_lo, s5
	s_andn2_b32 exec_lo, exec_lo, s5
	s_cbranch_execnz .LBB2_194
; %bb.195:
	s_or_b32 exec_lo, exec_lo, s5
.LBB2_196:
	s_or_b32 exec_lo, exec_lo, s4
.LBB2_197:
	s_or_b32 exec_lo, exec_lo, s1
	v_mov_b32_e32 v9, 0
	v_readfirstlane_b32 s5, v3
	v_readfirstlane_b32 s4, v2
	s_mov_b32 s1, exec_lo
	s_clause 0x1
	global_load_dwordx2 v[10:11], v9, s[2:3] offset:40
	global_load_dwordx4 v[4:7], v9, s[2:3]
	s_waitcnt vmcnt(1)
	v_readfirstlane_b32 s6, v10
	v_readfirstlane_b32 s7, v11
	s_and_b64 s[6:7], s[6:7], s[4:5]
	s_mul_i32 s8, s7, 24
	s_mul_hi_u32 s9, s6, 24
	s_mul_i32 s10, s6, 24
	s_add_i32 s9, s9, s8
	s_waitcnt vmcnt(0)
	v_add_co_u32 v12, vcc_lo, v4, s10
	v_add_co_ci_u32_e64 v13, null, s9, v5, vcc_lo
	s_and_saveexec_b32 s8, s0
	s_cbranch_execz .LBB2_199
; %bb.198:
	v_mov_b32_e32 v8, s1
	v_mov_b32_e32 v10, 2
	;; [unrolled: 1-line block ×3, first 2 shown]
	global_store_dwordx4 v[12:13], v[8:11], off offset:8
.LBB2_199:
	s_or_b32 exec_lo, exec_lo, s8
	v_cvt_f64_f32_e32 v[2:3], v32
	s_lshl_b64 s[6:7], s[6:7], 12
	s_mov_b32 s8, 0
	v_add_co_u32 v6, vcc_lo, v6, s6
	v_add_co_ci_u32_e64 v7, null, s7, v7, vcc_lo
	s_mov_b32 s9, s8
	s_mov_b32 s10, s8
	s_mov_b32 s11, s8
	v_readfirstlane_b32 s6, v6
	v_add_co_u32 v6, vcc_lo, v6, v30
	v_mov_b32_e32 v8, s8
	v_mov_b32_e32 v9, s9
	;; [unrolled: 1-line block ×4, first 2 shown]
	v_readfirstlane_b32 s7, v7
	v_add_co_ci_u32_e64 v7, null, 0, v7, vcc_lo
	v_and_or_b32 v0, 0xffffff1f, v0, 32
	global_store_dwordx4 v30, v[8:11], s[6:7] offset:16
	global_store_dwordx4 v30, v[8:11], s[6:7] offset:32
	global_store_dwordx4 v30, v[0:3], s[6:7]
	global_store_dwordx4 v30, v[8:11], s[6:7] offset:48
	s_and_saveexec_b32 s1, s0
	s_cbranch_execz .LBB2_207
; %bb.200:
	v_mov_b32_e32 v8, 0
	v_mov_b32_e32 v14, s4
	;; [unrolled: 1-line block ×3, first 2 shown]
	s_clause 0x1
	global_load_dwordx2 v[16:17], v8, s[2:3] offset:32 glc dlc
	global_load_dwordx2 v[0:1], v8, s[2:3] offset:40
	s_waitcnt vmcnt(0)
	v_readfirstlane_b32 s6, v0
	v_readfirstlane_b32 s7, v1
	s_and_b64 s[6:7], s[6:7], s[4:5]
	s_mul_i32 s7, s7, 24
	s_mul_hi_u32 s8, s6, 24
	s_mul_i32 s6, s6, 24
	s_add_i32 s8, s8, s7
	v_add_co_u32 v4, vcc_lo, v4, s6
	v_add_co_ci_u32_e64 v5, null, s8, v5, vcc_lo
	s_mov_b32 s6, exec_lo
	global_store_dwordx2 v[4:5], v[16:17], off
	s_waitcnt_vscnt null, 0x0
	global_atomic_cmpswap_x2 v[2:3], v8, v[14:17], s[2:3] offset:32 glc
	s_waitcnt vmcnt(0)
	v_cmpx_ne_u64_e64 v[2:3], v[16:17]
	s_cbranch_execz .LBB2_203
; %bb.201:
	s_mov_b32 s7, 0
.LBB2_202:                              ; =>This Inner Loop Header: Depth=1
	v_mov_b32_e32 v0, s4
	v_mov_b32_e32 v1, s5
	s_sleep 1
	global_store_dwordx2 v[4:5], v[2:3], off
	s_waitcnt_vscnt null, 0x0
	global_atomic_cmpswap_x2 v[0:1], v8, v[0:3], s[2:3] offset:32 glc
	s_waitcnt vmcnt(0)
	v_cmp_eq_u64_e32 vcc_lo, v[0:1], v[2:3]
	v_mov_b32_e32 v3, v1
	v_mov_b32_e32 v2, v0
	s_or_b32 s7, vcc_lo, s7
	s_andn2_b32 exec_lo, exec_lo, s7
	s_cbranch_execnz .LBB2_202
.LBB2_203:
	s_or_b32 exec_lo, exec_lo, s6
	v_mov_b32_e32 v3, 0
	s_mov_b32 s7, exec_lo
	s_mov_b32 s6, exec_lo
	v_mbcnt_lo_u32_b32 v2, s7, 0
	global_load_dwordx2 v[0:1], v3, s[2:3] offset:16
	v_cmpx_eq_u32_e32 0, v2
	s_cbranch_execz .LBB2_205
; %bb.204:
	s_bcnt1_i32_b32 s7, s7
	v_mov_b32_e32 v2, s7
	s_waitcnt vmcnt(0)
	global_atomic_add_x2 v[0:1], v[2:3], off offset:8
.LBB2_205:
	s_or_b32 exec_lo, exec_lo, s6
	s_waitcnt vmcnt(0)
	global_load_dwordx2 v[2:3], v[0:1], off offset:16
	s_waitcnt vmcnt(0)
	v_cmp_eq_u64_e32 vcc_lo, 0, v[2:3]
	s_cbranch_vccnz .LBB2_207
; %bb.206:
	global_load_dword v0, v[0:1], off offset:24
	v_mov_b32_e32 v1, 0
	s_waitcnt vmcnt(0)
	v_readfirstlane_b32 s6, v0
	s_waitcnt_vscnt null, 0x0
	global_store_dwordx2 v[2:3], v[0:1], off
	s_and_b32 m0, s6, 0x7fffff
	s_sendmsg sendmsg(MSG_INTERRUPT)
.LBB2_207:
	s_or_b32 exec_lo, exec_lo, s1
	s_branch .LBB2_211
	.p2align	6
.LBB2_208:                              ;   in Loop: Header=BB2_211 Depth=1
	s_or_b32 exec_lo, exec_lo, s1
	v_readfirstlane_b32 s1, v0
	s_cmp_eq_u32 s1, 0
	s_cbranch_scc1 .LBB2_210
; %bb.209:                              ;   in Loop: Header=BB2_211 Depth=1
	s_sleep 1
	s_cbranch_execnz .LBB2_211
	s_branch .LBB2_213
	.p2align	6
.LBB2_210:
	s_branch .LBB2_213
.LBB2_211:                              ; =>This Inner Loop Header: Depth=1
	v_mov_b32_e32 v0, 1
	s_and_saveexec_b32 s1, s0
	s_cbranch_execz .LBB2_208
; %bb.212:                              ;   in Loop: Header=BB2_211 Depth=1
	global_load_dword v0, v[12:13], off offset:20 glc dlc
	s_waitcnt vmcnt(0)
	buffer_gl1_inv
	buffer_gl0_inv
	v_and_b32_e32 v0, 1, v0
	s_branch .LBB2_208
.LBB2_213:
	global_load_dwordx2 v[0:1], v[6:7], off
	s_and_saveexec_b32 s6, s0
	s_cbranch_execz .LBB2_217
; %bb.214:
	v_mov_b32_e32 v8, 0
	s_clause 0x2
	global_load_dwordx2 v[2:3], v8, s[2:3] offset:40
	global_load_dwordx2 v[11:12], v8, s[2:3] offset:24 glc dlc
	global_load_dwordx2 v[4:5], v8, s[2:3]
	s_waitcnt vmcnt(2)
	v_readfirstlane_b32 s8, v2
	v_readfirstlane_b32 s9, v3
	s_add_u32 s7, s8, 1
	s_addc_u32 s10, s9, 0
	s_add_u32 s0, s7, s4
	s_addc_u32 s1, s10, s5
	s_cmp_eq_u64 s[0:1], 0
	s_cselect_b32 s1, s10, s1
	s_cselect_b32 s0, s7, s0
	v_mov_b32_e32 v10, s1
	s_and_b64 s[4:5], s[0:1], s[8:9]
	v_mov_b32_e32 v9, s0
	s_mul_i32 s5, s5, 24
	s_mul_hi_u32 s7, s4, 24
	s_mul_i32 s4, s4, 24
	s_add_i32 s7, s7, s5
	s_waitcnt vmcnt(0)
	v_add_co_u32 v6, vcc_lo, v4, s4
	v_add_co_ci_u32_e64 v7, null, s7, v5, vcc_lo
	global_store_dwordx2 v[6:7], v[11:12], off
	s_waitcnt_vscnt null, 0x0
	global_atomic_cmpswap_x2 v[4:5], v8, v[9:12], s[2:3] offset:24 glc
	s_waitcnt vmcnt(0)
	v_cmp_ne_u64_e32 vcc_lo, v[4:5], v[11:12]
	s_and_b32 exec_lo, exec_lo, vcc_lo
	s_cbranch_execz .LBB2_217
; %bb.215:
	s_mov_b32 s4, 0
.LBB2_216:                              ; =>This Inner Loop Header: Depth=1
	v_mov_b32_e32 v2, s0
	v_mov_b32_e32 v3, s1
	s_sleep 1
	global_store_dwordx2 v[6:7], v[4:5], off
	s_waitcnt_vscnt null, 0x0
	global_atomic_cmpswap_x2 v[2:3], v8, v[2:5], s[2:3] offset:24 glc
	s_waitcnt vmcnt(0)
	v_cmp_eq_u64_e32 vcc_lo, v[2:3], v[4:5]
	v_mov_b32_e32 v5, v3
	v_mov_b32_e32 v4, v2
	s_or_b32 s4, vcc_lo, s4
	s_andn2_b32 exec_lo, exec_lo, s4
	s_cbranch_execnz .LBB2_216
.LBB2_217:
	s_or_b32 exec_lo, exec_lo, s6
	v_readfirstlane_b32 s0, v31
	v_mov_b32_e32 v2, 0
	v_mov_b32_e32 v3, 0
	v_cmp_eq_u32_e64 s0, s0, v31
	s_and_saveexec_b32 s1, s0
	s_cbranch_execz .LBB2_223
; %bb.218:
	v_mov_b32_e32 v4, 0
	s_mov_b32 s4, exec_lo
	global_load_dwordx2 v[7:8], v4, s[2:3] offset:24 glc dlc
	s_waitcnt vmcnt(0)
	buffer_gl1_inv
	buffer_gl0_inv
	s_clause 0x1
	global_load_dwordx2 v[2:3], v4, s[2:3] offset:40
	global_load_dwordx2 v[5:6], v4, s[2:3]
	s_waitcnt vmcnt(1)
	v_and_b32_e32 v3, v3, v8
	v_and_b32_e32 v2, v2, v7
	v_mul_lo_u32 v3, v3, 24
	v_mul_hi_u32 v9, v2, 24
	v_mul_lo_u32 v2, v2, 24
	v_add_nc_u32_e32 v3, v9, v3
	s_waitcnt vmcnt(0)
	v_add_co_u32 v2, vcc_lo, v5, v2
	v_add_co_ci_u32_e64 v3, null, v6, v3, vcc_lo
	global_load_dwordx2 v[5:6], v[2:3], off glc dlc
	s_waitcnt vmcnt(0)
	global_atomic_cmpswap_x2 v[2:3], v4, v[5:8], s[2:3] offset:24 glc
	s_waitcnt vmcnt(0)
	buffer_gl1_inv
	buffer_gl0_inv
	v_cmpx_ne_u64_e64 v[2:3], v[7:8]
	s_cbranch_execz .LBB2_222
; %bb.219:
	s_mov_b32 s5, 0
	.p2align	6
.LBB2_220:                              ; =>This Inner Loop Header: Depth=1
	s_sleep 1
	s_clause 0x1
	global_load_dwordx2 v[5:6], v4, s[2:3] offset:40
	global_load_dwordx2 v[9:10], v4, s[2:3]
	v_mov_b32_e32 v8, v3
	v_mov_b32_e32 v7, v2
	s_waitcnt vmcnt(1)
	v_and_b32_e32 v2, v5, v7
	v_and_b32_e32 v5, v6, v8
	s_waitcnt vmcnt(0)
	v_mad_u64_u32 v[2:3], null, v2, 24, v[9:10]
	v_mad_u64_u32 v[5:6], null, v5, 24, v[3:4]
	v_mov_b32_e32 v3, v5
	global_load_dwordx2 v[5:6], v[2:3], off glc dlc
	s_waitcnt vmcnt(0)
	global_atomic_cmpswap_x2 v[2:3], v4, v[5:8], s[2:3] offset:24 glc
	s_waitcnt vmcnt(0)
	buffer_gl1_inv
	buffer_gl0_inv
	v_cmp_eq_u64_e32 vcc_lo, v[2:3], v[7:8]
	s_or_b32 s5, vcc_lo, s5
	s_andn2_b32 exec_lo, exec_lo, s5
	s_cbranch_execnz .LBB2_220
; %bb.221:
	s_or_b32 exec_lo, exec_lo, s5
.LBB2_222:
	s_or_b32 exec_lo, exec_lo, s4
.LBB2_223:
	s_or_b32 exec_lo, exec_lo, s1
	v_mov_b32_e32 v9, 0
	v_readfirstlane_b32 s5, v3
	v_readfirstlane_b32 s4, v2
	s_mov_b32 s1, exec_lo
	s_clause 0x1
	global_load_dwordx2 v[10:11], v9, s[2:3] offset:40
	global_load_dwordx4 v[4:7], v9, s[2:3]
	s_waitcnt vmcnt(1)
	v_readfirstlane_b32 s6, v10
	v_readfirstlane_b32 s7, v11
	s_and_b64 s[6:7], s[6:7], s[4:5]
	s_mul_i32 s8, s7, 24
	s_mul_hi_u32 s9, s6, 24
	s_mul_i32 s10, s6, 24
	s_add_i32 s9, s9, s8
	s_waitcnt vmcnt(0)
	v_add_co_u32 v12, vcc_lo, v4, s10
	v_add_co_ci_u32_e64 v13, null, s9, v5, vcc_lo
	s_and_saveexec_b32 s8, s0
	s_cbranch_execz .LBB2_225
; %bb.224:
	v_mov_b32_e32 v8, s1
	v_mov_b32_e32 v10, 2
	;; [unrolled: 1-line block ×3, first 2 shown]
	global_store_dwordx4 v[12:13], v[8:11], off offset:8
.LBB2_225:
	s_or_b32 exec_lo, exec_lo, s8
	v_cvt_f64_f32_e32 v[2:3], v29
	s_lshl_b64 s[6:7], s[6:7], 12
	s_mov_b32 s8, 0
	v_add_co_u32 v10, vcc_lo, v6, s6
	v_add_co_ci_u32_e64 v11, null, s7, v7, vcc_lo
	s_mov_b32 s9, s8
	s_mov_b32 s10, s8
	;; [unrolled: 1-line block ×3, first 2 shown]
	v_mov_b32_e32 v6, s8
	v_mov_b32_e32 v7, s9
	;; [unrolled: 1-line block ×4, first 2 shown]
	v_readfirstlane_b32 s6, v10
	v_readfirstlane_b32 s7, v11
	v_and_or_b32 v0, 0xffffff1d, v0, 34
	global_store_dwordx4 v30, v[6:9], s[6:7] offset:16
	global_store_dwordx4 v30, v[6:9], s[6:7] offset:32
	global_store_dwordx4 v30, v[0:3], s[6:7]
	global_store_dwordx4 v30, v[6:9], s[6:7] offset:48
	s_and_saveexec_b32 s1, s0
	s_cbranch_execz .LBB2_233
; %bb.226:
	v_mov_b32_e32 v6, 0
	v_mov_b32_e32 v7, s4
	;; [unrolled: 1-line block ×3, first 2 shown]
	s_clause 0x1
	global_load_dwordx2 v[9:10], v6, s[2:3] offset:32 glc dlc
	global_load_dwordx2 v[0:1], v6, s[2:3] offset:40
	s_waitcnt vmcnt(0)
	v_readfirstlane_b32 s6, v0
	v_readfirstlane_b32 s7, v1
	s_and_b64 s[6:7], s[6:7], s[4:5]
	s_mul_i32 s7, s7, 24
	s_mul_hi_u32 s8, s6, 24
	s_mul_i32 s6, s6, 24
	s_add_i32 s8, s8, s7
	v_add_co_u32 v4, vcc_lo, v4, s6
	v_add_co_ci_u32_e64 v5, null, s8, v5, vcc_lo
	s_mov_b32 s6, exec_lo
	global_store_dwordx2 v[4:5], v[9:10], off
	s_waitcnt_vscnt null, 0x0
	global_atomic_cmpswap_x2 v[2:3], v6, v[7:10], s[2:3] offset:32 glc
	s_waitcnt vmcnt(0)
	v_cmpx_ne_u64_e64 v[2:3], v[9:10]
	s_cbranch_execz .LBB2_229
; %bb.227:
	s_mov_b32 s7, 0
.LBB2_228:                              ; =>This Inner Loop Header: Depth=1
	v_mov_b32_e32 v0, s4
	v_mov_b32_e32 v1, s5
	s_sleep 1
	global_store_dwordx2 v[4:5], v[2:3], off
	s_waitcnt_vscnt null, 0x0
	global_atomic_cmpswap_x2 v[0:1], v6, v[0:3], s[2:3] offset:32 glc
	s_waitcnt vmcnt(0)
	v_cmp_eq_u64_e32 vcc_lo, v[0:1], v[2:3]
	v_mov_b32_e32 v3, v1
	v_mov_b32_e32 v2, v0
	s_or_b32 s7, vcc_lo, s7
	s_andn2_b32 exec_lo, exec_lo, s7
	s_cbranch_execnz .LBB2_228
.LBB2_229:
	s_or_b32 exec_lo, exec_lo, s6
	v_mov_b32_e32 v3, 0
	s_mov_b32 s7, exec_lo
	s_mov_b32 s6, exec_lo
	v_mbcnt_lo_u32_b32 v2, s7, 0
	global_load_dwordx2 v[0:1], v3, s[2:3] offset:16
	v_cmpx_eq_u32_e32 0, v2
	s_cbranch_execz .LBB2_231
; %bb.230:
	s_bcnt1_i32_b32 s7, s7
	v_mov_b32_e32 v2, s7
	s_waitcnt vmcnt(0)
	global_atomic_add_x2 v[0:1], v[2:3], off offset:8
.LBB2_231:
	s_or_b32 exec_lo, exec_lo, s6
	s_waitcnt vmcnt(0)
	global_load_dwordx2 v[2:3], v[0:1], off offset:16
	s_waitcnt vmcnt(0)
	v_cmp_eq_u64_e32 vcc_lo, 0, v[2:3]
	s_cbranch_vccnz .LBB2_233
; %bb.232:
	global_load_dword v0, v[0:1], off offset:24
	v_mov_b32_e32 v1, 0
	s_waitcnt vmcnt(0)
	v_readfirstlane_b32 s6, v0
	s_waitcnt_vscnt null, 0x0
	global_store_dwordx2 v[2:3], v[0:1], off
	s_and_b32 m0, s6, 0x7fffff
	s_sendmsg sendmsg(MSG_INTERRUPT)
.LBB2_233:
	s_or_b32 exec_lo, exec_lo, s1
	s_branch .LBB2_237
	.p2align	6
.LBB2_234:                              ;   in Loop: Header=BB2_237 Depth=1
	s_or_b32 exec_lo, exec_lo, s1
	v_readfirstlane_b32 s1, v0
	s_cmp_eq_u32 s1, 0
	s_cbranch_scc1 .LBB2_236
; %bb.235:                              ;   in Loop: Header=BB2_237 Depth=1
	s_sleep 1
	s_cbranch_execnz .LBB2_237
	s_branch .LBB2_239
	.p2align	6
.LBB2_236:
	s_branch .LBB2_239
.LBB2_237:                              ; =>This Inner Loop Header: Depth=1
	v_mov_b32_e32 v0, 1
	s_and_saveexec_b32 s1, s0
	s_cbranch_execz .LBB2_234
; %bb.238:                              ;   in Loop: Header=BB2_237 Depth=1
	global_load_dword v0, v[12:13], off offset:20 glc dlc
	s_waitcnt vmcnt(0)
	buffer_gl1_inv
	buffer_gl0_inv
	v_and_b32_e32 v0, 1, v0
	s_branch .LBB2_234
.LBB2_239:
	s_and_b32 exec_lo, exec_lo, s0
	s_cbranch_execz .LBB2_243
; %bb.240:
	v_mov_b32_e32 v6, 0
	s_clause 0x2
	global_load_dwordx2 v[0:1], v6, s[2:3] offset:40
	global_load_dwordx2 v[9:10], v6, s[2:3] offset:24 glc dlc
	global_load_dwordx2 v[2:3], v6, s[2:3]
	s_waitcnt vmcnt(2)
	v_readfirstlane_b32 s6, v0
	v_readfirstlane_b32 s7, v1
	s_add_u32 s8, s6, 1
	s_addc_u32 s9, s7, 0
	s_add_u32 s0, s8, s4
	s_addc_u32 s1, s9, s5
	s_cmp_eq_u64 s[0:1], 0
	s_cselect_b32 s1, s9, s1
	s_cselect_b32 s0, s8, s0
	v_mov_b32_e32 v8, s1
	s_and_b64 s[4:5], s[0:1], s[6:7]
	v_mov_b32_e32 v7, s0
	s_mul_i32 s5, s5, 24
	s_mul_hi_u32 s6, s4, 24
	s_mul_i32 s4, s4, 24
	s_add_i32 s6, s6, s5
	s_waitcnt vmcnt(0)
	v_add_co_u32 v4, vcc_lo, v2, s4
	v_add_co_ci_u32_e64 v5, null, s6, v3, vcc_lo
	global_store_dwordx2 v[4:5], v[9:10], off
	s_waitcnt_vscnt null, 0x0
	global_atomic_cmpswap_x2 v[2:3], v6, v[7:10], s[2:3] offset:24 glc
	s_waitcnt vmcnt(0)
	v_cmp_ne_u64_e32 vcc_lo, v[2:3], v[9:10]
	s_and_b32 exec_lo, exec_lo, vcc_lo
	s_cbranch_execz .LBB2_243
; %bb.241:
	s_mov_b32 s4, 0
.LBB2_242:                              ; =>This Inner Loop Header: Depth=1
	v_mov_b32_e32 v0, s0
	v_mov_b32_e32 v1, s1
	s_sleep 1
	global_store_dwordx2 v[4:5], v[2:3], off
	s_waitcnt_vscnt null, 0x0
	global_atomic_cmpswap_x2 v[0:1], v6, v[0:3], s[2:3] offset:24 glc
	s_waitcnt vmcnt(0)
	v_cmp_eq_u64_e32 vcc_lo, v[0:1], v[2:3]
	v_mov_b32_e32 v3, v1
	v_mov_b32_e32 v2, v0
	s_or_b32 s4, vcc_lo, s4
	s_andn2_b32 exec_lo, exec_lo, s4
	s_cbranch_execnz .LBB2_242
.LBB2_243:
	s_endpgm
	.section	.rodata,"a",@progbits
	.p2align	6, 0x0
	.amdhsa_kernel _Z32check_int4_quantized_correctnessP7uint4_2P6__halfS2_S1_S1_i
		.amdhsa_group_segment_fixed_size 0
		.amdhsa_private_segment_fixed_size 0
		.amdhsa_kernarg_size 288
		.amdhsa_user_sgpr_count 6
		.amdhsa_user_sgpr_private_segment_buffer 1
		.amdhsa_user_sgpr_dispatch_ptr 0
		.amdhsa_user_sgpr_queue_ptr 0
		.amdhsa_user_sgpr_kernarg_segment_ptr 1
		.amdhsa_user_sgpr_dispatch_id 0
		.amdhsa_user_sgpr_flat_scratch_init 0
		.amdhsa_user_sgpr_private_segment_size 0
		.amdhsa_wavefront_size32 1
		.amdhsa_uses_dynamic_stack 0
		.amdhsa_system_sgpr_private_segment_wavefront_offset 0
		.amdhsa_system_sgpr_workgroup_id_x 1
		.amdhsa_system_sgpr_workgroup_id_y 0
		.amdhsa_system_sgpr_workgroup_id_z 0
		.amdhsa_system_sgpr_workgroup_info 0
		.amdhsa_system_vgpr_workitem_id 0
		.amdhsa_next_free_vgpr 37
		.amdhsa_next_free_sgpr 18
		.amdhsa_reserve_vcc 1
		.amdhsa_reserve_flat_scratch 0
		.amdhsa_float_round_mode_32 0
		.amdhsa_float_round_mode_16_64 0
		.amdhsa_float_denorm_mode_32 3
		.amdhsa_float_denorm_mode_16_64 3
		.amdhsa_dx10_clamp 1
		.amdhsa_ieee_mode 1
		.amdhsa_fp16_overflow 0
		.amdhsa_workgroup_processor_mode 1
		.amdhsa_memory_ordered 1
		.amdhsa_forward_progress 1
		.amdhsa_shared_vgpr_count 0
		.amdhsa_exception_fp_ieee_invalid_op 0
		.amdhsa_exception_fp_denorm_src 0
		.amdhsa_exception_fp_ieee_div_zero 0
		.amdhsa_exception_fp_ieee_overflow 0
		.amdhsa_exception_fp_ieee_underflow 0
		.amdhsa_exception_fp_ieee_inexact 0
		.amdhsa_exception_int_div_zero 0
	.end_amdhsa_kernel
	.text
.Lfunc_end2:
	.size	_Z32check_int4_quantized_correctnessP7uint4_2P6__halfS2_S1_S1_i, .Lfunc_end2-_Z32check_int4_quantized_correctnessP7uint4_2P6__halfS2_S1_S1_i
                                        ; -- End function
	.set _Z32check_int4_quantized_correctnessP7uint4_2P6__halfS2_S1_S1_i.num_vgpr, 37
	.set _Z32check_int4_quantized_correctnessP7uint4_2P6__halfS2_S1_S1_i.num_agpr, 0
	.set _Z32check_int4_quantized_correctnessP7uint4_2P6__halfS2_S1_S1_i.numbered_sgpr, 18
	.set _Z32check_int4_quantized_correctnessP7uint4_2P6__halfS2_S1_S1_i.num_named_barrier, 0
	.set _Z32check_int4_quantized_correctnessP7uint4_2P6__halfS2_S1_S1_i.private_seg_size, 0
	.set _Z32check_int4_quantized_correctnessP7uint4_2P6__halfS2_S1_S1_i.uses_vcc, 1
	.set _Z32check_int4_quantized_correctnessP7uint4_2P6__halfS2_S1_S1_i.uses_flat_scratch, 0
	.set _Z32check_int4_quantized_correctnessP7uint4_2P6__halfS2_S1_S1_i.has_dyn_sized_stack, 0
	.set _Z32check_int4_quantized_correctnessP7uint4_2P6__halfS2_S1_S1_i.has_recursion, 0
	.set _Z32check_int4_quantized_correctnessP7uint4_2P6__halfS2_S1_S1_i.has_indirect_call, 0
	.section	.AMDGPU.csdata,"",@progbits
; Kernel info:
; codeLenInByte = 10780
; TotalNumSgprs: 20
; NumVgprs: 37
; ScratchSize: 0
; MemoryBound: 0
; FloatMode: 240
; IeeeMode: 1
; LDSByteSize: 0 bytes/workgroup (compile time only)
; SGPRBlocks: 0
; VGPRBlocks: 4
; NumSGPRsForWavesPerEU: 20
; NumVGPRsForWavesPerEU: 37
; Occupancy: 16
; WaveLimiterHint : 1
; COMPUTE_PGM_RSRC2:SCRATCH_EN: 0
; COMPUTE_PGM_RSRC2:USER_SGPR: 6
; COMPUTE_PGM_RSRC2:TRAP_HANDLER: 0
; COMPUTE_PGM_RSRC2:TGID_X_EN: 1
; COMPUTE_PGM_RSRC2:TGID_Y_EN: 0
; COMPUTE_PGM_RSRC2:TGID_Z_EN: 0
; COMPUTE_PGM_RSRC2:TIDIG_COMP_CNT: 0
	.section	.text._Z19gemv_quantized_int4ILj64EEvP7uint4_2P6__halfS3_jS2_S2_j,"axG",@progbits,_Z19gemv_quantized_int4ILj64EEvP7uint4_2P6__halfS3_jS2_S2_j,comdat
	.protected	_Z19gemv_quantized_int4ILj64EEvP7uint4_2P6__halfS3_jS2_S2_j ; -- Begin function _Z19gemv_quantized_int4ILj64EEvP7uint4_2P6__halfS3_jS2_S2_j
	.globl	_Z19gemv_quantized_int4ILj64EEvP7uint4_2P6__halfS3_jS2_S2_j
	.p2align	8
	.type	_Z19gemv_quantized_int4ILj64EEvP7uint4_2P6__halfS3_jS2_S2_j,@function
_Z19gemv_quantized_int4ILj64EEvP7uint4_2P6__halfS3_jS2_S2_j: ; @_Z19gemv_quantized_int4ILj64EEvP7uint4_2P6__halfS3_jS2_S2_j
; %bb.0:
	v_mov_b32_e32 v8, 0
	s_clause 0x3
	s_load_dword s12, s[4:5], 0x34
	s_load_dword s6, s[4:5], 0x20
	s_load_dwordx4 s[0:3], s[4:5], 0x0
	s_load_dwordx2 s[8:9], s[4:5], 0x10
	s_add_u32 s10, s4, 40
	s_addc_u32 s11, s5, 0
	global_load_dword v5, v8, s[4:5] offset:28
	s_waitcnt lgkmcnt(0)
	s_lshr_b32 s12, s12, 16
	s_cmp_lt_u32 s6, 16
	v_mad_u64_u32 v[2:3], null, s7, s12, v[1:2]
	s_cbranch_scc1 .LBB3_5
; %bb.1:
	s_load_dword s4, s[4:5], 0x18
	s_load_dword s5, s[10:11], 0xc
	v_mov_b32_e32 v4, 0
	s_waitcnt vmcnt(0)
	v_cvt_f32_f16_sdwa v7, v5 dst_sel:DWORD dst_unused:UNUSED_PAD src0_sel:WORD_1
	v_lshlrev_b32_e32 v3, 1, v0
	v_mov_b32_e32 v8, v4
	s_waitcnt lgkmcnt(0)
	s_lshr_b32 s4, s4, 3
	s_and_b32 s7, s5, 0xffff
	v_mul_lo_u32 v6, v2, s4
	s_lshr_b32 s5, s6, 4
	s_lshl_b32 s6, s7, 1
	s_branch .LBB3_3
.LBB3_2:                                ;   in Loop: Header=BB3_3 Depth=1
	s_or_b32 exec_lo, exec_lo, s7
	v_add_nc_u32_e32 v3, s6, v3
	s_add_i32 s5, s5, -1
	s_cmp_eq_u32 s5, 0
	s_cbranch_scc1 .LBB3_5
.LBB3_3:                                ; =>This Inner Loop Header: Depth=1
	s_mov_b32 s7, exec_lo
	v_cmpx_gt_u32_e64 s4, v3
	s_cbranch_execz .LBB3_2
; %bb.4:                                ;   in Loop: Header=BB3_3 Depth=1
	v_add_nc_u32_e32 v13, v6, v3
	v_mov_b32_e32 v14, v4
	v_mov_b32_e32 v17, v4
	v_add_nc_u32_e32 v16, 1, v13
	v_lshlrev_b64 v[9:10], 2, v[13:14]
	v_lshlrev_b64 v[16:17], 2, v[16:17]
	v_add_co_u32 v9, vcc_lo, s0, v9
	v_add_co_ci_u32_e64 v10, null, s1, v10, vcc_lo
	global_load_dword v18, v[9:10], off
	v_lshlrev_b64 v[9:10], 4, v[3:4]
	v_add_co_u32 v14, vcc_lo, s2, v9
	v_add_co_ci_u32_e64 v15, null, s3, v10, vcc_lo
	v_add_co_u32 v16, vcc_lo, s0, v16
	v_add_co_ci_u32_e64 v17, null, s1, v17, vcc_lo
	global_load_dwordx4 v[9:12], v[14:15], off
	global_load_dword v17, v[16:17], off
	global_load_dwordx4 v[13:16], v[14:15], off offset:16
	s_waitcnt vmcnt(3)
	v_and_b32_e32 v19, 15, v18
	v_lshrrev_b16 v20, 4, v18
	v_lshrrev_b32_e32 v21, 8, v18
	v_bfe_u32 v22, v18, 8, 4
	v_cvt_f32_ubyte0_e32 v19, v19
	v_and_b32_e32 v20, 15, v20
	v_lshrrev_b16 v21, 4, v21
	v_cvt_f32_ubyte0_e32 v22, v22
	v_sub_f32_e32 v19, v19, v7
	v_cvt_f32_ubyte0_e32 v20, v20
	v_and_b32_e32 v21, 15, v21
	v_sub_f32_e32 v22, v22, v7
	s_waitcnt vmcnt(2)
	v_fma_mix_f32 v8, v19, v9, v8 op_sel_hi:[0,1,0]
	v_sub_f32_e32 v19, v20, v7
	v_bfe_u32 v20, v18, 16, 4
	v_cvt_f32_ubyte0_e32 v21, v21
	v_fma_mix_f32 v8, v19, v9, v8 op_sel:[0,1,0] op_sel_hi:[0,1,0]
	v_bfe_u32 v9, v18, 20, 4
	v_cvt_f32_ubyte0_e32 v19, v20
	v_sub_f32_e32 v20, v21, v7
	v_bfe_u32 v21, v18, 24, 4
	v_fma_mix_f32 v8, v22, v10, v8 op_sel_hi:[0,1,0]
	v_cvt_f32_ubyte0_e32 v9, v9
	v_sub_f32_e32 v19, v19, v7
	v_fma_mix_f32 v8, v20, v10, v8 op_sel:[0,1,0] op_sel_hi:[0,1,0]
	v_lshrrev_b32_e32 v10, 28, v18
	v_cvt_f32_ubyte0_e32 v18, v21
	v_sub_f32_e32 v9, v9, v7
	s_waitcnt vmcnt(1)
	v_lshrrev_b16 v20, 4, v17
	v_fma_mix_f32 v8, v19, v11, v8 op_sel_hi:[0,1,0]
	v_cvt_f32_ubyte0_e32 v10, v10
	v_and_b32_e32 v19, 15, v17
	v_sub_f32_e32 v18, v18, v7
	v_fma_mix_f32 v8, v9, v11, v8 op_sel:[0,1,0] op_sel_hi:[0,1,0]
	v_lshrrev_b32_e32 v9, 8, v17
	v_sub_f32_e32 v10, v10, v7
	v_cvt_f32_ubyte0_e32 v11, v19
	v_and_b32_e32 v19, 15, v20
	v_fma_mix_f32 v8, v18, v12, v8 op_sel_hi:[0,1,0]
	v_bfe_u32 v18, v17, 8, 4
	v_lshrrev_b16 v9, 4, v9
	v_sub_f32_e32 v11, v11, v7
	v_cvt_f32_ubyte0_e32 v19, v19
	v_fma_mix_f32 v8, v10, v12, v8 op_sel:[0,1,0] op_sel_hi:[0,1,0]
	v_cvt_f32_ubyte0_e32 v10, v18
	v_and_b32_e32 v9, 15, v9
	v_sub_f32_e32 v12, v19, v7
	s_waitcnt vmcnt(0)
	v_fma_mix_f32 v8, v11, v13, v8 op_sel_hi:[0,1,0]
	v_bfe_u32 v11, v17, 16, 4
	v_sub_f32_e32 v10, v10, v7
	v_cvt_f32_ubyte0_e32 v9, v9
	v_fma_mix_f32 v8, v12, v13, v8 op_sel:[0,1,0] op_sel_hi:[0,1,0]
	v_bfe_u32 v12, v17, 20, 4
	v_cvt_f32_ubyte0_e32 v11, v11
	v_sub_f32_e32 v9, v9, v7
	v_fma_mix_f32 v8, v10, v14, v8 op_sel_hi:[0,1,0]
	v_bfe_u32 v10, v17, 24, 4
	v_cvt_f32_ubyte0_e32 v12, v12
	v_sub_f32_e32 v11, v11, v7
	v_fma_mix_f32 v8, v9, v14, v8 op_sel:[0,1,0] op_sel_hi:[0,1,0]
	v_cvt_f32_ubyte0_e32 v9, v10
	v_sub_f32_e32 v10, v12, v7
	v_fma_mix_f32 v8, v11, v15, v8 op_sel_hi:[0,1,0]
	v_lshrrev_b32_e32 v11, 28, v17
	v_sub_f32_e32 v9, v9, v7
	v_fma_mix_f32 v8, v10, v15, v8 op_sel:[0,1,0] op_sel_hi:[0,1,0]
	v_cvt_f32_ubyte0_e32 v10, v11
	v_fma_mix_f32 v8, v9, v16, v8 op_sel_hi:[0,1,0]
	v_sub_f32_e32 v9, v10, v7
	v_fma_mix_f32 v8, v9, v16, v8 op_sel:[0,1,0] op_sel_hi:[0,1,0]
	s_branch .LBB3_2
.LBB3_5:
	s_load_dword s0, s[10:11], 0xc
	s_waitcnt vmcnt(0)
	v_cvt_f32_f16_e32 v3, v5
	v_mul_f32_e32 v4, v8, v3
	s_waitcnt lgkmcnt(0)
	s_and_b32 s0, s0, 0xffff
	s_cmp_lt_u32 s0, 64
	s_cbranch_scc0 .LBB3_26
; %bb.6:
	s_cmp_lt_u32 s0, 32
	s_cbranch_scc0 .LBB3_27
.LBB3_7:
	s_cmp_lt_u32 s0, 16
	s_cbranch_scc0 .LBB3_28
.LBB3_8:
	s_cmp_lt_u32 s0, 8
	s_cbranch_scc0 .LBB3_29
.LBB3_9:
	s_cmp_lt_u32 s0, 4
	s_cbranch_scc0 .LBB3_30
.LBB3_10:
	s_cmp_lt_u32 s0, 2
	s_cbranch_scc0 .LBB3_31
.LBB3_11:
	s_cmp_gt_u32 s0, 64
	s_cbranch_scc0 .LBB3_32
.LBB3_12:
	v_and_b32_e32 v5, 63, v0
	s_mov_b32 s1, exec_lo
	v_cmpx_eq_u32_e32 0, v5
; %bb.13:
	v_lshrrev_b32_e32 v3, 4, v0
	v_lshl_or_b32 v3, v1, 8, v3
	ds_write_b32 v3, v4
; %bb.14:
	s_or_b32 exec_lo, exec_lo, s1
	s_lshr_b32 s1, s0, 6
	v_mov_b32_e32 v3, 0
	v_cmp_gt_u32_e32 vcc_lo, s1, v0
	s_waitcnt lgkmcnt(0)
	s_barrier
	buffer_gl0_inv
	s_and_saveexec_b32 s1, vcc_lo
; %bb.15:
	v_lshlrev_b32_e32 v3, 2, v5
	v_lshl_or_b32 v1, v1, 8, v3
	ds_read_b32 v3, v1
; %bb.16:
	s_or_b32 exec_lo, exec_lo, s1
	s_mov_b32 s1, exec_lo
	v_cmpx_gt_u32_e32 64, v0
	s_cbranch_execz .LBB3_24
; %bb.17:
	v_mbcnt_lo_u32_b32 v1, -1, 0
	s_cmpk_lt_u32 s0, 0x1000
	s_cbranch_scc0 .LBB3_36
; %bb.18:
	s_cmpk_lt_u32 s0, 0x800
	s_cbranch_scc0 .LBB3_37
.LBB3_19:
	s_cmpk_lt_u32 s0, 0x400
	s_cbranch_scc0 .LBB3_38
.LBB3_20:
	s_cmpk_lt_u32 s0, 0x200
	s_cbranch_scc0 .LBB3_39
.LBB3_21:
	s_cmpk_lt_u32 s0, 0x100
	s_cbranch_scc0 .LBB3_40
.LBB3_22:
	s_cmpk_lt_u32 s0, 0x80
	s_cbranch_scc1 .LBB3_24
.LBB3_23:
	v_cmp_ne_u32_e32 vcc_lo, 31, v1
	v_add_co_ci_u32_e64 v1, null, 0, v1, vcc_lo
	v_lshlrev_b32_e32 v1, 2, v1
	s_waitcnt lgkmcnt(0)
	ds_bpermute_b32 v1, v1, v3
	s_waitcnt lgkmcnt(0)
	v_add_f32_e32 v3, v3, v1
.LBB3_24:
	s_or_b32 exec_lo, exec_lo, s1
	v_cmp_eq_u32_e64 s0, 0, v0
.LBB3_25:
	s_waitcnt lgkmcnt(0)
	v_mov_b32_e32 v4, v3
	s_and_saveexec_b32 s1, s0
	s_cbranch_execnz .LBB3_34
	s_branch .LBB3_35
.LBB3_26:
	v_mbcnt_lo_u32_b32 v3, -1, 0
	v_lshlrev_b32_e32 v3, 2, v3
	ds_bpermute_b32 v3, v3, v4
	s_waitcnt lgkmcnt(0)
	v_add_f32_e32 v4, v4, v3
	s_cmp_lt_u32 s0, 32
	s_cbranch_scc1 .LBB3_7
.LBB3_27:
	v_mbcnt_lo_u32_b32 v3, -1, 0
	v_lshl_or_b32 v3, v3, 2, 64
	ds_bpermute_b32 v3, v3, v4
	s_waitcnt lgkmcnt(0)
	v_add_f32_e32 v4, v4, v3
	s_cmp_lt_u32 s0, 16
	s_cbranch_scc1 .LBB3_8
.LBB3_28:
	v_mbcnt_lo_u32_b32 v3, -1, 0
	v_and_b32_e32 v5, 24, v3
	v_cmp_eq_u32_e32 vcc_lo, 24, v5
	v_cndmask_b32_e64 v5, 8, 0, vcc_lo
	v_add_lshl_u32 v3, v5, v3, 2
	ds_bpermute_b32 v3, v3, v4
	s_waitcnt lgkmcnt(0)
	v_add_f32_e32 v4, v4, v3
	s_cmp_lt_u32 s0, 8
	s_cbranch_scc1 .LBB3_9
.LBB3_29:
	v_mbcnt_lo_u32_b32 v3, -1, 0
	v_and_b32_e32 v5, 28, v3
	v_cmp_eq_u32_e32 vcc_lo, 28, v5
	v_cndmask_b32_e64 v5, 4, 0, vcc_lo
	v_add_lshl_u32 v3, v5, v3, 2
	ds_bpermute_b32 v3, v3, v4
	s_waitcnt lgkmcnt(0)
	v_add_f32_e32 v4, v4, v3
	s_cmp_lt_u32 s0, 4
	s_cbranch_scc1 .LBB3_10
.LBB3_30:
	v_mbcnt_lo_u32_b32 v3, -1, 0
	v_and_b32_e32 v5, 30, v3
	v_cmp_eq_u32_e32 vcc_lo, 30, v5
	v_cndmask_b32_e64 v5, 2, 0, vcc_lo
	v_add_lshl_u32 v3, v5, v3, 2
	ds_bpermute_b32 v3, v3, v4
	s_waitcnt lgkmcnt(0)
	v_add_f32_e32 v4, v4, v3
	s_cmp_lt_u32 s0, 2
	s_cbranch_scc1 .LBB3_11
.LBB3_31:
	v_mbcnt_lo_u32_b32 v3, -1, 0
	v_cmp_ne_u32_e32 vcc_lo, 31, v3
	v_add_co_ci_u32_e64 v3, null, 0, v3, vcc_lo
	v_lshlrev_b32_e32 v3, 2, v3
	ds_bpermute_b32 v3, v3, v4
	s_waitcnt lgkmcnt(0)
	v_add_f32_e32 v4, v4, v3
	s_cmp_gt_u32 s0, 64
	s_cbranch_scc1 .LBB3_12
.LBB3_32:
	s_mov_b32 s0, 0
                                        ; implicit-def: $vgpr3
	s_cbranch_execz .LBB3_25
; %bb.33:
	v_cmp_eq_u32_e32 vcc_lo, 0, v0
	s_andn2_b32 s0, s0, exec_lo
	s_and_b32 s1, vcc_lo, exec_lo
	s_or_b32 s0, s0, s1
	s_and_saveexec_b32 s1, s0
	s_cbranch_execz .LBB3_35
.LBB3_34:
	s_waitcnt lgkmcnt(0)
	v_mov_b32_e32 v3, 0
	v_lshlrev_b64 v[0:1], 1, v[2:3]
	v_cvt_f16_f32_e32 v2, v4
	v_add_co_u32 v0, vcc_lo, s8, v0
	v_add_co_ci_u32_e64 v1, null, s9, v1, vcc_lo
	global_store_short v[0:1], v2, off
.LBB3_35:
	s_endpgm
.LBB3_36:
	v_lshlrev_b32_e32 v5, 2, v1
	s_waitcnt lgkmcnt(0)
	ds_bpermute_b32 v5, v5, v3
	s_waitcnt lgkmcnt(0)
	v_add_f32_e32 v3, v3, v5
	s_cmpk_lt_u32 s0, 0x800
	s_cbranch_scc1 .LBB3_19
.LBB3_37:
	v_lshl_or_b32 v5, v1, 2, 64
	s_waitcnt lgkmcnt(0)
	ds_bpermute_b32 v5, v5, v3
	s_waitcnt lgkmcnt(0)
	v_add_f32_e32 v3, v3, v5
	s_cmpk_lt_u32 s0, 0x400
	s_cbranch_scc1 .LBB3_20
.LBB3_38:
	v_and_b32_e32 v5, 24, v1
	v_cmp_eq_u32_e32 vcc_lo, 24, v5
	v_cndmask_b32_e64 v5, 8, 0, vcc_lo
	v_add_lshl_u32 v5, v5, v1, 2
	s_waitcnt lgkmcnt(0)
	ds_bpermute_b32 v5, v5, v3
	s_waitcnt lgkmcnt(0)
	v_add_f32_e32 v3, v3, v5
	s_cmpk_lt_u32 s0, 0x200
	s_cbranch_scc1 .LBB3_21
.LBB3_39:
	v_and_b32_e32 v5, 28, v1
	v_cmp_eq_u32_e32 vcc_lo, 28, v5
	v_cndmask_b32_e64 v5, 4, 0, vcc_lo
	v_add_lshl_u32 v5, v5, v1, 2
	s_waitcnt lgkmcnt(0)
	ds_bpermute_b32 v5, v5, v3
	s_waitcnt lgkmcnt(0)
	v_add_f32_e32 v3, v3, v5
	s_cmpk_lt_u32 s0, 0x100
	s_cbranch_scc1 .LBB3_22
.LBB3_40:
	v_and_b32_e32 v5, 30, v1
	v_cmp_eq_u32_e32 vcc_lo, 30, v5
	v_cndmask_b32_e64 v5, 2, 0, vcc_lo
	v_add_lshl_u32 v5, v5, v1, 2
	s_waitcnt lgkmcnt(0)
	ds_bpermute_b32 v5, v5, v3
	s_waitcnt lgkmcnt(0)
	v_add_f32_e32 v3, v3, v5
	s_cmpk_lt_u32 s0, 0x80
	s_cbranch_scc0 .LBB3_23
	s_branch .LBB3_24
	.section	.rodata,"a",@progbits
	.p2align	6, 0x0
	.amdhsa_kernel _Z19gemv_quantized_int4ILj64EEvP7uint4_2P6__halfS3_jS2_S2_j
		.amdhsa_group_segment_fixed_size 16384
		.amdhsa_private_segment_fixed_size 0
		.amdhsa_kernarg_size 296
		.amdhsa_user_sgpr_count 6
		.amdhsa_user_sgpr_private_segment_buffer 1
		.amdhsa_user_sgpr_dispatch_ptr 0
		.amdhsa_user_sgpr_queue_ptr 0
		.amdhsa_user_sgpr_kernarg_segment_ptr 1
		.amdhsa_user_sgpr_dispatch_id 0
		.amdhsa_user_sgpr_flat_scratch_init 0
		.amdhsa_user_sgpr_private_segment_size 0
		.amdhsa_wavefront_size32 1
		.amdhsa_uses_dynamic_stack 0
		.amdhsa_system_sgpr_private_segment_wavefront_offset 0
		.amdhsa_system_sgpr_workgroup_id_x 1
		.amdhsa_system_sgpr_workgroup_id_y 1
		.amdhsa_system_sgpr_workgroup_id_z 0
		.amdhsa_system_sgpr_workgroup_info 0
		.amdhsa_system_vgpr_workitem_id 1
		.amdhsa_next_free_vgpr 23
		.amdhsa_next_free_sgpr 13
		.amdhsa_reserve_vcc 1
		.amdhsa_reserve_flat_scratch 0
		.amdhsa_float_round_mode_32 0
		.amdhsa_float_round_mode_16_64 0
		.amdhsa_float_denorm_mode_32 3
		.amdhsa_float_denorm_mode_16_64 3
		.amdhsa_dx10_clamp 1
		.amdhsa_ieee_mode 1
		.amdhsa_fp16_overflow 0
		.amdhsa_workgroup_processor_mode 1
		.amdhsa_memory_ordered 1
		.amdhsa_forward_progress 1
		.amdhsa_shared_vgpr_count 0
		.amdhsa_exception_fp_ieee_invalid_op 0
		.amdhsa_exception_fp_denorm_src 0
		.amdhsa_exception_fp_ieee_div_zero 0
		.amdhsa_exception_fp_ieee_overflow 0
		.amdhsa_exception_fp_ieee_underflow 0
		.amdhsa_exception_fp_ieee_inexact 0
		.amdhsa_exception_int_div_zero 0
	.end_amdhsa_kernel
	.section	.text._Z19gemv_quantized_int4ILj64EEvP7uint4_2P6__halfS3_jS2_S2_j,"axG",@progbits,_Z19gemv_quantized_int4ILj64EEvP7uint4_2P6__halfS3_jS2_S2_j,comdat
.Lfunc_end3:
	.size	_Z19gemv_quantized_int4ILj64EEvP7uint4_2P6__halfS3_jS2_S2_j, .Lfunc_end3-_Z19gemv_quantized_int4ILj64EEvP7uint4_2P6__halfS3_jS2_S2_j
                                        ; -- End function
	.set _Z19gemv_quantized_int4ILj64EEvP7uint4_2P6__halfS3_jS2_S2_j.num_vgpr, 23
	.set _Z19gemv_quantized_int4ILj64EEvP7uint4_2P6__halfS3_jS2_S2_j.num_agpr, 0
	.set _Z19gemv_quantized_int4ILj64EEvP7uint4_2P6__halfS3_jS2_S2_j.numbered_sgpr, 13
	.set _Z19gemv_quantized_int4ILj64EEvP7uint4_2P6__halfS3_jS2_S2_j.num_named_barrier, 0
	.set _Z19gemv_quantized_int4ILj64EEvP7uint4_2P6__halfS3_jS2_S2_j.private_seg_size, 0
	.set _Z19gemv_quantized_int4ILj64EEvP7uint4_2P6__halfS3_jS2_S2_j.uses_vcc, 1
	.set _Z19gemv_quantized_int4ILj64EEvP7uint4_2P6__halfS3_jS2_S2_j.uses_flat_scratch, 0
	.set _Z19gemv_quantized_int4ILj64EEvP7uint4_2P6__halfS3_jS2_S2_j.has_dyn_sized_stack, 0
	.set _Z19gemv_quantized_int4ILj64EEvP7uint4_2P6__halfS3_jS2_S2_j.has_recursion, 0
	.set _Z19gemv_quantized_int4ILj64EEvP7uint4_2P6__halfS3_jS2_S2_j.has_indirect_call, 0
	.section	.AMDGPU.csdata,"",@progbits
; Kernel info:
; codeLenInByte = 1640
; TotalNumSgprs: 15
; NumVgprs: 23
; ScratchSize: 0
; MemoryBound: 0
; FloatMode: 240
; IeeeMode: 1
; LDSByteSize: 16384 bytes/workgroup (compile time only)
; SGPRBlocks: 0
; VGPRBlocks: 2
; NumSGPRsForWavesPerEU: 15
; NumVGPRsForWavesPerEU: 23
; Occupancy: 16
; WaveLimiterHint : 0
; COMPUTE_PGM_RSRC2:SCRATCH_EN: 0
; COMPUTE_PGM_RSRC2:USER_SGPR: 6
; COMPUTE_PGM_RSRC2:TRAP_HANDLER: 0
; COMPUTE_PGM_RSRC2:TGID_X_EN: 1
; COMPUTE_PGM_RSRC2:TGID_Y_EN: 1
; COMPUTE_PGM_RSRC2:TGID_Z_EN: 0
; COMPUTE_PGM_RSRC2:TIDIG_COMP_CNT: 1
	.section	.text._Z19gemv_quantized_int4ILj32EEvP7uint4_2P6__halfS3_jS2_S2_j,"axG",@progbits,_Z19gemv_quantized_int4ILj32EEvP7uint4_2P6__halfS3_jS2_S2_j,comdat
	.protected	_Z19gemv_quantized_int4ILj32EEvP7uint4_2P6__halfS3_jS2_S2_j ; -- Begin function _Z19gemv_quantized_int4ILj32EEvP7uint4_2P6__halfS3_jS2_S2_j
	.globl	_Z19gemv_quantized_int4ILj32EEvP7uint4_2P6__halfS3_jS2_S2_j
	.p2align	8
	.type	_Z19gemv_quantized_int4ILj32EEvP7uint4_2P6__halfS3_jS2_S2_j,@function
_Z19gemv_quantized_int4ILj32EEvP7uint4_2P6__halfS3_jS2_S2_j: ; @_Z19gemv_quantized_int4ILj32EEvP7uint4_2P6__halfS3_jS2_S2_j
; %bb.0:
	v_mov_b32_e32 v8, 0
	s_clause 0x3
	s_load_dword s12, s[4:5], 0x34
	s_load_dword s6, s[4:5], 0x20
	s_load_dwordx4 s[0:3], s[4:5], 0x0
	s_load_dwordx2 s[8:9], s[4:5], 0x10
	s_add_u32 s10, s4, 40
	s_addc_u32 s11, s5, 0
	global_load_dword v5, v8, s[4:5] offset:28
	s_waitcnt lgkmcnt(0)
	s_lshr_b32 s12, s12, 16
	s_cmp_lt_u32 s6, 16
	v_mad_u64_u32 v[2:3], null, s7, s12, v[1:2]
	s_cbranch_scc1 .LBB4_5
; %bb.1:
	s_load_dword s4, s[4:5], 0x18
	s_load_dword s5, s[10:11], 0xc
	v_mov_b32_e32 v4, 0
	s_waitcnt vmcnt(0)
	v_cvt_f32_f16_sdwa v7, v5 dst_sel:DWORD dst_unused:UNUSED_PAD src0_sel:WORD_1
	v_lshlrev_b32_e32 v3, 1, v0
	v_mov_b32_e32 v8, v4
	s_waitcnt lgkmcnt(0)
	s_lshr_b32 s4, s4, 3
	s_and_b32 s7, s5, 0xffff
	v_mul_lo_u32 v6, v2, s4
	s_lshr_b32 s5, s6, 4
	s_lshl_b32 s6, s7, 1
	s_branch .LBB4_3
.LBB4_2:                                ;   in Loop: Header=BB4_3 Depth=1
	s_or_b32 exec_lo, exec_lo, s7
	v_add_nc_u32_e32 v3, s6, v3
	s_add_i32 s5, s5, -1
	s_cmp_eq_u32 s5, 0
	s_cbranch_scc1 .LBB4_5
.LBB4_3:                                ; =>This Inner Loop Header: Depth=1
	s_mov_b32 s7, exec_lo
	v_cmpx_gt_u32_e64 s4, v3
	s_cbranch_execz .LBB4_2
; %bb.4:                                ;   in Loop: Header=BB4_3 Depth=1
	v_add_nc_u32_e32 v13, v6, v3
	v_mov_b32_e32 v14, v4
	v_mov_b32_e32 v17, v4
	v_add_nc_u32_e32 v16, 1, v13
	v_lshlrev_b64 v[9:10], 2, v[13:14]
	v_lshlrev_b64 v[16:17], 2, v[16:17]
	v_add_co_u32 v9, vcc_lo, s0, v9
	v_add_co_ci_u32_e64 v10, null, s1, v10, vcc_lo
	global_load_dword v18, v[9:10], off
	v_lshlrev_b64 v[9:10], 4, v[3:4]
	v_add_co_u32 v14, vcc_lo, s2, v9
	v_add_co_ci_u32_e64 v15, null, s3, v10, vcc_lo
	v_add_co_u32 v16, vcc_lo, s0, v16
	v_add_co_ci_u32_e64 v17, null, s1, v17, vcc_lo
	global_load_dwordx4 v[9:12], v[14:15], off
	global_load_dword v17, v[16:17], off
	global_load_dwordx4 v[13:16], v[14:15], off offset:16
	s_waitcnt vmcnt(3)
	v_and_b32_e32 v19, 15, v18
	v_lshrrev_b16 v20, 4, v18
	v_lshrrev_b32_e32 v21, 8, v18
	v_bfe_u32 v22, v18, 8, 4
	v_cvt_f32_ubyte0_e32 v19, v19
	v_and_b32_e32 v20, 15, v20
	v_lshrrev_b16 v21, 4, v21
	v_cvt_f32_ubyte0_e32 v22, v22
	v_sub_f32_e32 v19, v19, v7
	v_cvt_f32_ubyte0_e32 v20, v20
	v_and_b32_e32 v21, 15, v21
	v_sub_f32_e32 v22, v22, v7
	s_waitcnt vmcnt(2)
	v_fma_mix_f32 v8, v19, v9, v8 op_sel_hi:[0,1,0]
	v_sub_f32_e32 v19, v20, v7
	v_bfe_u32 v20, v18, 16, 4
	v_cvt_f32_ubyte0_e32 v21, v21
	v_fma_mix_f32 v8, v19, v9, v8 op_sel:[0,1,0] op_sel_hi:[0,1,0]
	v_bfe_u32 v9, v18, 20, 4
	v_cvt_f32_ubyte0_e32 v19, v20
	v_sub_f32_e32 v20, v21, v7
	v_bfe_u32 v21, v18, 24, 4
	v_fma_mix_f32 v8, v22, v10, v8 op_sel_hi:[0,1,0]
	v_cvt_f32_ubyte0_e32 v9, v9
	v_sub_f32_e32 v19, v19, v7
	v_fma_mix_f32 v8, v20, v10, v8 op_sel:[0,1,0] op_sel_hi:[0,1,0]
	v_lshrrev_b32_e32 v10, 28, v18
	v_cvt_f32_ubyte0_e32 v18, v21
	v_sub_f32_e32 v9, v9, v7
	s_waitcnt vmcnt(1)
	v_lshrrev_b16 v20, 4, v17
	v_fma_mix_f32 v8, v19, v11, v8 op_sel_hi:[0,1,0]
	v_cvt_f32_ubyte0_e32 v10, v10
	v_and_b32_e32 v19, 15, v17
	v_sub_f32_e32 v18, v18, v7
	v_fma_mix_f32 v8, v9, v11, v8 op_sel:[0,1,0] op_sel_hi:[0,1,0]
	v_lshrrev_b32_e32 v9, 8, v17
	v_sub_f32_e32 v10, v10, v7
	v_cvt_f32_ubyte0_e32 v11, v19
	v_and_b32_e32 v19, 15, v20
	v_fma_mix_f32 v8, v18, v12, v8 op_sel_hi:[0,1,0]
	v_bfe_u32 v18, v17, 8, 4
	v_lshrrev_b16 v9, 4, v9
	v_sub_f32_e32 v11, v11, v7
	v_cvt_f32_ubyte0_e32 v19, v19
	v_fma_mix_f32 v8, v10, v12, v8 op_sel:[0,1,0] op_sel_hi:[0,1,0]
	v_cvt_f32_ubyte0_e32 v10, v18
	v_and_b32_e32 v9, 15, v9
	v_sub_f32_e32 v12, v19, v7
	s_waitcnt vmcnt(0)
	v_fma_mix_f32 v8, v11, v13, v8 op_sel_hi:[0,1,0]
	v_bfe_u32 v11, v17, 16, 4
	v_sub_f32_e32 v10, v10, v7
	v_cvt_f32_ubyte0_e32 v9, v9
	v_fma_mix_f32 v8, v12, v13, v8 op_sel:[0,1,0] op_sel_hi:[0,1,0]
	v_bfe_u32 v12, v17, 20, 4
	v_cvt_f32_ubyte0_e32 v11, v11
	v_sub_f32_e32 v9, v9, v7
	v_fma_mix_f32 v8, v10, v14, v8 op_sel_hi:[0,1,0]
	v_bfe_u32 v10, v17, 24, 4
	v_cvt_f32_ubyte0_e32 v12, v12
	v_sub_f32_e32 v11, v11, v7
	v_fma_mix_f32 v8, v9, v14, v8 op_sel:[0,1,0] op_sel_hi:[0,1,0]
	v_cvt_f32_ubyte0_e32 v9, v10
	v_sub_f32_e32 v10, v12, v7
	v_fma_mix_f32 v8, v11, v15, v8 op_sel_hi:[0,1,0]
	v_lshrrev_b32_e32 v11, 28, v17
	v_sub_f32_e32 v9, v9, v7
	v_fma_mix_f32 v8, v10, v15, v8 op_sel:[0,1,0] op_sel_hi:[0,1,0]
	v_cvt_f32_ubyte0_e32 v10, v11
	v_fma_mix_f32 v8, v9, v16, v8 op_sel_hi:[0,1,0]
	v_sub_f32_e32 v9, v10, v7
	v_fma_mix_f32 v8, v9, v16, v8 op_sel:[0,1,0] op_sel_hi:[0,1,0]
	s_branch .LBB4_2
.LBB4_5:
	s_load_dword s0, s[10:11], 0xc
	s_waitcnt vmcnt(0)
	v_cvt_f32_f16_e32 v3, v5
	v_mul_f32_e32 v4, v8, v3
	s_waitcnt lgkmcnt(0)
	s_and_b32 s1, s0, 0xffff
	s_cmp_gt_u32 s1, 63
	s_cselect_b32 s0, -1, 0
	s_cmp_lt_u32 s1, 64
	s_cbranch_scc0 .LBB4_26
; %bb.6:
	s_cmp_lt_u32 s1, 32
	s_cbranch_scc0 .LBB4_27
.LBB4_7:
	s_cmp_lt_u32 s1, 16
	s_cbranch_scc0 .LBB4_28
.LBB4_8:
	s_cmp_lt_u32 s1, 8
	s_cbranch_scc0 .LBB4_29
.LBB4_9:
	s_cmp_lt_u32 s1, 4
	s_cbranch_scc0 .LBB4_30
.LBB4_10:
	s_cmp_lt_u32 s1, 2
	s_cbranch_scc0 .LBB4_31
.LBB4_11:
	s_cmp_gt_u32 s1, 32
	s_cbranch_scc0 .LBB4_32
.LBB4_12:
	v_and_b32_e32 v5, 31, v0
	s_mov_b32 s2, exec_lo
	v_cmpx_eq_u32_e32 0, v5
; %bb.13:
	v_lshrrev_b32_e32 v3, 3, v0
	v_lshl_or_b32 v3, v1, 7, v3
	ds_write_b32 v3, v4
; %bb.14:
	s_or_b32 exec_lo, exec_lo, s2
	s_lshr_b32 s2, s1, 5
	v_mov_b32_e32 v3, 0
	v_cmp_gt_u32_e32 vcc_lo, s2, v0
	s_waitcnt lgkmcnt(0)
	s_barrier
	buffer_gl0_inv
	s_and_saveexec_b32 s2, vcc_lo
; %bb.15:
	v_lshlrev_b32_e32 v3, 2, v5
	v_lshl_or_b32 v1, v1, 7, v3
	ds_read_b32 v3, v1
; %bb.16:
	s_or_b32 exec_lo, exec_lo, s2
	s_mov_b32 s2, exec_lo
	v_cmpx_gt_u32_e32 32, v0
	s_cbranch_execz .LBB4_24
; %bb.17:
	v_mbcnt_lo_u32_b32 v1, -1, 0
	s_cmpk_lt_u32 s1, 0x800
	s_cbranch_scc0 .LBB4_36
; %bb.18:
	s_cmpk_lt_u32 s1, 0x400
	s_cbranch_scc0 .LBB4_37
.LBB4_19:
	s_cmpk_lt_u32 s1, 0x200
	s_cbranch_scc0 .LBB4_38
.LBB4_20:
	s_cmpk_lt_u32 s1, 0x100
	s_cbranch_scc0 .LBB4_39
.LBB4_21:
	s_cmpk_lt_u32 s1, 0x80
	s_cbranch_scc0 .LBB4_40
.LBB4_22:
	s_andn2_b32 vcc_lo, exec_lo, s0
	s_cbranch_vccnz .LBB4_24
.LBB4_23:
	v_cmp_ne_u32_e32 vcc_lo, 31, v1
	v_add_co_ci_u32_e64 v1, null, 0, v1, vcc_lo
	v_lshlrev_b32_e32 v1, 2, v1
	s_waitcnt lgkmcnt(0)
	ds_bpermute_b32 v1, v1, v3
	s_waitcnt lgkmcnt(0)
	v_add_f32_e32 v3, v3, v1
.LBB4_24:
	s_or_b32 exec_lo, exec_lo, s2
	v_cmp_eq_u32_e64 s0, 0, v0
.LBB4_25:
	s_waitcnt lgkmcnt(0)
	v_mov_b32_e32 v4, v3
	s_and_saveexec_b32 s1, s0
	s_cbranch_execnz .LBB4_34
	s_branch .LBB4_35
.LBB4_26:
	v_mbcnt_lo_u32_b32 v3, -1, 0
	v_lshlrev_b32_e32 v3, 2, v3
	ds_bpermute_b32 v3, v3, v4
	s_waitcnt lgkmcnt(0)
	v_add_f32_e32 v4, v4, v3
	s_cmp_lt_u32 s1, 32
	s_cbranch_scc1 .LBB4_7
.LBB4_27:
	v_mbcnt_lo_u32_b32 v3, -1, 0
	v_lshl_or_b32 v3, v3, 2, 64
	ds_bpermute_b32 v3, v3, v4
	s_waitcnt lgkmcnt(0)
	v_add_f32_e32 v4, v4, v3
	s_cmp_lt_u32 s1, 16
	s_cbranch_scc1 .LBB4_8
.LBB4_28:
	v_mbcnt_lo_u32_b32 v3, -1, 0
	v_and_b32_e32 v5, 24, v3
	v_cmp_eq_u32_e32 vcc_lo, 24, v5
	v_cndmask_b32_e64 v5, 8, 0, vcc_lo
	v_add_lshl_u32 v3, v5, v3, 2
	ds_bpermute_b32 v3, v3, v4
	s_waitcnt lgkmcnt(0)
	v_add_f32_e32 v4, v4, v3
	s_cmp_lt_u32 s1, 8
	s_cbranch_scc1 .LBB4_9
.LBB4_29:
	v_mbcnt_lo_u32_b32 v3, -1, 0
	v_and_b32_e32 v5, 28, v3
	v_cmp_eq_u32_e32 vcc_lo, 28, v5
	v_cndmask_b32_e64 v5, 4, 0, vcc_lo
	v_add_lshl_u32 v3, v5, v3, 2
	ds_bpermute_b32 v3, v3, v4
	s_waitcnt lgkmcnt(0)
	v_add_f32_e32 v4, v4, v3
	s_cmp_lt_u32 s1, 4
	s_cbranch_scc1 .LBB4_10
.LBB4_30:
	v_mbcnt_lo_u32_b32 v3, -1, 0
	v_and_b32_e32 v5, 30, v3
	v_cmp_eq_u32_e32 vcc_lo, 30, v5
	v_cndmask_b32_e64 v5, 2, 0, vcc_lo
	v_add_lshl_u32 v3, v5, v3, 2
	ds_bpermute_b32 v3, v3, v4
	s_waitcnt lgkmcnt(0)
	v_add_f32_e32 v4, v4, v3
	s_cmp_lt_u32 s1, 2
	s_cbranch_scc1 .LBB4_11
.LBB4_31:
	v_mbcnt_lo_u32_b32 v3, -1, 0
	v_cmp_ne_u32_e32 vcc_lo, 31, v3
	v_add_co_ci_u32_e64 v3, null, 0, v3, vcc_lo
	v_lshlrev_b32_e32 v3, 2, v3
	ds_bpermute_b32 v3, v3, v4
	s_waitcnt lgkmcnt(0)
	v_add_f32_e32 v4, v4, v3
	s_cmp_gt_u32 s1, 32
	s_cbranch_scc1 .LBB4_12
.LBB4_32:
	s_mov_b32 s0, 0
                                        ; implicit-def: $vgpr3
	s_cbranch_execz .LBB4_25
; %bb.33:
	v_cmp_eq_u32_e32 vcc_lo, 0, v0
	s_andn2_b32 s0, s0, exec_lo
	s_and_b32 s1, vcc_lo, exec_lo
	s_or_b32 s0, s0, s1
	s_and_saveexec_b32 s1, s0
	s_cbranch_execz .LBB4_35
.LBB4_34:
	s_waitcnt lgkmcnt(0)
	v_mov_b32_e32 v3, 0
	v_lshlrev_b64 v[0:1], 1, v[2:3]
	v_cvt_f16_f32_e32 v2, v4
	v_add_co_u32 v0, vcc_lo, s8, v0
	v_add_co_ci_u32_e64 v1, null, s9, v1, vcc_lo
	global_store_short v[0:1], v2, off
.LBB4_35:
	s_endpgm
.LBB4_36:
	v_lshlrev_b32_e32 v5, 2, v1
	s_waitcnt lgkmcnt(0)
	ds_bpermute_b32 v5, v5, v3
	s_waitcnt lgkmcnt(0)
	v_add_f32_e32 v3, v3, v5
	s_cmpk_lt_u32 s1, 0x400
	s_cbranch_scc1 .LBB4_19
.LBB4_37:
	v_lshl_or_b32 v5, v1, 2, 64
	s_waitcnt lgkmcnt(0)
	ds_bpermute_b32 v5, v5, v3
	s_waitcnt lgkmcnt(0)
	v_add_f32_e32 v3, v3, v5
	s_cmpk_lt_u32 s1, 0x200
	s_cbranch_scc1 .LBB4_20
.LBB4_38:
	v_and_b32_e32 v5, 24, v1
	v_cmp_eq_u32_e32 vcc_lo, 24, v5
	v_cndmask_b32_e64 v5, 8, 0, vcc_lo
	v_add_lshl_u32 v5, v5, v1, 2
	s_waitcnt lgkmcnt(0)
	ds_bpermute_b32 v5, v5, v3
	s_waitcnt lgkmcnt(0)
	v_add_f32_e32 v3, v3, v5
	s_cmpk_lt_u32 s1, 0x100
	s_cbranch_scc1 .LBB4_21
.LBB4_39:
	v_and_b32_e32 v5, 28, v1
	v_cmp_eq_u32_e32 vcc_lo, 28, v5
	v_cndmask_b32_e64 v5, 4, 0, vcc_lo
	v_add_lshl_u32 v5, v5, v1, 2
	s_waitcnt lgkmcnt(0)
	ds_bpermute_b32 v5, v5, v3
	s_waitcnt lgkmcnt(0)
	v_add_f32_e32 v3, v3, v5
	s_cmpk_lt_u32 s1, 0x80
	s_cbranch_scc1 .LBB4_22
.LBB4_40:
	v_and_b32_e32 v5, 30, v1
	v_cmp_eq_u32_e32 vcc_lo, 30, v5
	v_cndmask_b32_e64 v5, 2, 0, vcc_lo
	v_add_lshl_u32 v5, v5, v1, 2
	s_waitcnt lgkmcnt(0)
	ds_bpermute_b32 v5, v5, v3
	s_waitcnt lgkmcnt(0)
	v_add_f32_e32 v3, v3, v5
	s_andn2_b32 vcc_lo, exec_lo, s0
	s_cbranch_vccz .LBB4_23
	s_branch .LBB4_24
	.section	.rodata,"a",@progbits
	.p2align	6, 0x0
	.amdhsa_kernel _Z19gemv_quantized_int4ILj32EEvP7uint4_2P6__halfS3_jS2_S2_j
		.amdhsa_group_segment_fixed_size 8192
		.amdhsa_private_segment_fixed_size 0
		.amdhsa_kernarg_size 296
		.amdhsa_user_sgpr_count 6
		.amdhsa_user_sgpr_private_segment_buffer 1
		.amdhsa_user_sgpr_dispatch_ptr 0
		.amdhsa_user_sgpr_queue_ptr 0
		.amdhsa_user_sgpr_kernarg_segment_ptr 1
		.amdhsa_user_sgpr_dispatch_id 0
		.amdhsa_user_sgpr_flat_scratch_init 0
		.amdhsa_user_sgpr_private_segment_size 0
		.amdhsa_wavefront_size32 1
		.amdhsa_uses_dynamic_stack 0
		.amdhsa_system_sgpr_private_segment_wavefront_offset 0
		.amdhsa_system_sgpr_workgroup_id_x 1
		.amdhsa_system_sgpr_workgroup_id_y 1
		.amdhsa_system_sgpr_workgroup_id_z 0
		.amdhsa_system_sgpr_workgroup_info 0
		.amdhsa_system_vgpr_workitem_id 1
		.amdhsa_next_free_vgpr 23
		.amdhsa_next_free_sgpr 13
		.amdhsa_reserve_vcc 1
		.amdhsa_reserve_flat_scratch 0
		.amdhsa_float_round_mode_32 0
		.amdhsa_float_round_mode_16_64 0
		.amdhsa_float_denorm_mode_32 3
		.amdhsa_float_denorm_mode_16_64 3
		.amdhsa_dx10_clamp 1
		.amdhsa_ieee_mode 1
		.amdhsa_fp16_overflow 0
		.amdhsa_workgroup_processor_mode 1
		.amdhsa_memory_ordered 1
		.amdhsa_forward_progress 1
		.amdhsa_shared_vgpr_count 0
		.amdhsa_exception_fp_ieee_invalid_op 0
		.amdhsa_exception_fp_denorm_src 0
		.amdhsa_exception_fp_ieee_div_zero 0
		.amdhsa_exception_fp_ieee_overflow 0
		.amdhsa_exception_fp_ieee_underflow 0
		.amdhsa_exception_fp_ieee_inexact 0
		.amdhsa_exception_int_div_zero 0
	.end_amdhsa_kernel
	.section	.text._Z19gemv_quantized_int4ILj32EEvP7uint4_2P6__halfS3_jS2_S2_j,"axG",@progbits,_Z19gemv_quantized_int4ILj32EEvP7uint4_2P6__halfS3_jS2_S2_j,comdat
.Lfunc_end4:
	.size	_Z19gemv_quantized_int4ILj32EEvP7uint4_2P6__halfS3_jS2_S2_j, .Lfunc_end4-_Z19gemv_quantized_int4ILj32EEvP7uint4_2P6__halfS3_jS2_S2_j
                                        ; -- End function
	.set _Z19gemv_quantized_int4ILj32EEvP7uint4_2P6__halfS3_jS2_S2_j.num_vgpr, 23
	.set _Z19gemv_quantized_int4ILj32EEvP7uint4_2P6__halfS3_jS2_S2_j.num_agpr, 0
	.set _Z19gemv_quantized_int4ILj32EEvP7uint4_2P6__halfS3_jS2_S2_j.numbered_sgpr, 13
	.set _Z19gemv_quantized_int4ILj32EEvP7uint4_2P6__halfS3_jS2_S2_j.num_named_barrier, 0
	.set _Z19gemv_quantized_int4ILj32EEvP7uint4_2P6__halfS3_jS2_S2_j.private_seg_size, 0
	.set _Z19gemv_quantized_int4ILj32EEvP7uint4_2P6__halfS3_jS2_S2_j.uses_vcc, 1
	.set _Z19gemv_quantized_int4ILj32EEvP7uint4_2P6__halfS3_jS2_S2_j.uses_flat_scratch, 0
	.set _Z19gemv_quantized_int4ILj32EEvP7uint4_2P6__halfS3_jS2_S2_j.has_dyn_sized_stack, 0
	.set _Z19gemv_quantized_int4ILj32EEvP7uint4_2P6__halfS3_jS2_S2_j.has_recursion, 0
	.set _Z19gemv_quantized_int4ILj32EEvP7uint4_2P6__halfS3_jS2_S2_j.has_indirect_call, 0
	.section	.AMDGPU.csdata,"",@progbits
; Kernel info:
; codeLenInByte = 1648
; TotalNumSgprs: 15
; NumVgprs: 23
; ScratchSize: 0
; MemoryBound: 0
; FloatMode: 240
; IeeeMode: 1
; LDSByteSize: 8192 bytes/workgroup (compile time only)
; SGPRBlocks: 0
; VGPRBlocks: 2
; NumSGPRsForWavesPerEU: 15
; NumVGPRsForWavesPerEU: 23
; Occupancy: 16
; WaveLimiterHint : 0
; COMPUTE_PGM_RSRC2:SCRATCH_EN: 0
; COMPUTE_PGM_RSRC2:USER_SGPR: 6
; COMPUTE_PGM_RSRC2:TRAP_HANDLER: 0
; COMPUTE_PGM_RSRC2:TGID_X_EN: 1
; COMPUTE_PGM_RSRC2:TGID_Y_EN: 1
; COMPUTE_PGM_RSRC2:TGID_Z_EN: 0
; COMPUTE_PGM_RSRC2:TIDIG_COMP_CNT: 1
	.section	.text._Z19gemv_quantized_int8ILj64EEvPaP6__halfS2_jS1_S1_j,"axG",@progbits,_Z19gemv_quantized_int8ILj64EEvPaP6__halfS2_jS1_S1_j,comdat
	.protected	_Z19gemv_quantized_int8ILj64EEvPaP6__halfS2_jS1_S1_j ; -- Begin function _Z19gemv_quantized_int8ILj64EEvPaP6__halfS2_jS1_S1_j
	.globl	_Z19gemv_quantized_int8ILj64EEvPaP6__halfS2_jS1_S1_j
	.p2align	8
	.type	_Z19gemv_quantized_int8ILj64EEvPaP6__halfS2_jS1_S1_j,@function
_Z19gemv_quantized_int8ILj64EEvPaP6__halfS2_jS1_S1_j: ; @_Z19gemv_quantized_int8ILj64EEvPaP6__halfS2_jS1_S1_j
; %bb.0:
	s_clause 0x3
	s_load_dword s6, s[4:5], 0x34
	s_load_dwordx2 s[10:11], s[4:5], 0x1c
	s_load_dwordx4 s[0:3], s[4:5], 0x0
	s_load_dwordx2 s[8:9], s[4:5], 0x10
	v_mov_b32_e32 v9, 0
	s_waitcnt lgkmcnt(0)
	s_lshr_b32 s12, s6, 16
	s_and_b32 s6, s6, 0xffff
	v_mad_u64_u32 v[2:3], null, s7, s12, v[1:2]
	s_cmp_lt_u32 s11, 8
	s_cbranch_scc1 .LBB5_13
; %bb.1:
	s_load_dword s4, s[4:5], 0x18
	s_lshr_b32 s7, s10, 16
	s_lshr_b32 s5, s11, 3
	v_cvt_f32_f16_e32 v7, s7
	s_waitcnt lgkmcnt(0)
	s_lshr_b32 s4, s4, 3
	s_cmp_eq_u32 s5, 1
	v_mul_lo_u32 v8, v2, s4
	s_cbranch_scc1 .LBB5_8
; %bb.2:
	v_mov_b32_e32 v4, 0
	v_add_nc_u32_e32 v10, s6, v8
	v_mov_b32_e32 v3, v0
	s_and_b32 s5, s5, 0x1ffffffe
	s_lshl_b32 s7, s6, 1
	v_mov_b32_e32 v9, v4
	s_mov_b32 s12, 0
	s_branch .LBB5_4
.LBB5_3:                                ;   in Loop: Header=BB5_4 Depth=1
	s_or_b32 exec_lo, exec_lo, s13
	v_add_nc_u32_e32 v3, s7, v3
	s_add_i32 s12, s12, 2
	s_cmp_eq_u32 s5, s12
	s_cbranch_scc1 .LBB5_9
.LBB5_4:                                ; =>This Inner Loop Header: Depth=1
	s_mov_b32 s13, exec_lo
	v_cmpx_gt_u32_e64 s4, v3
	s_cbranch_execz .LBB5_6
; %bb.5:                                ;   in Loop: Header=BB5_4 Depth=1
	v_add_nc_u32_e32 v5, v8, v3
	v_mov_b32_e32 v6, v4
	v_lshlrev_b64 v[11:12], 4, v[3:4]
	v_lshlrev_b64 v[5:6], 3, v[5:6]
	v_add_co_u32 v5, vcc_lo, s0, v5
	v_add_co_ci_u32_e64 v6, null, s1, v6, vcc_lo
	v_add_co_u32 v11, vcc_lo, s2, v11
	v_add_co_ci_u32_e64 v12, null, s3, v12, vcc_lo
	global_load_dwordx2 v[5:6], v[5:6], off
	global_load_dwordx4 v[11:14], v[11:12], off
	s_waitcnt vmcnt(1)
	v_cvt_f32_i32_sdwa v15, sext(v5) dst_sel:DWORD dst_unused:UNUSED_PAD src0_sel:BYTE_0
	v_cvt_f32_i32_sdwa v16, sext(v5) dst_sel:DWORD dst_unused:UNUSED_PAD src0_sel:BYTE_1
	v_cvt_f32_i32_sdwa v17, sext(v5) dst_sel:DWORD dst_unused:UNUSED_PAD src0_sel:BYTE_2
	v_cvt_f32_i32_sdwa v5, sext(v5) dst_sel:DWORD dst_unused:UNUSED_PAD src0_sel:BYTE_3
	v_sub_f32_e32 v15, v15, v7
	v_sub_f32_e32 v16, v16, v7
	;; [unrolled: 1-line block ×3, first 2 shown]
	s_waitcnt vmcnt(0)
	v_fma_mix_f32 v9, v15, v11, v9 op_sel_hi:[0,1,0]
	v_sub_f32_e32 v15, v17, v7
	v_fma_mix_f32 v9, v16, v11, v9 op_sel:[0,1,0] op_sel_hi:[0,1,0]
	v_cvt_f32_i32_sdwa v11, sext(v6) dst_sel:DWORD dst_unused:UNUSED_PAD src0_sel:BYTE_0
	v_fma_mix_f32 v9, v15, v12, v9 op_sel_hi:[0,1,0]
	v_cvt_f32_i32_sdwa v15, sext(v6) dst_sel:DWORD dst_unused:UNUSED_PAD src0_sel:BYTE_1
	v_sub_f32_e32 v11, v11, v7
	v_fma_mix_f32 v5, v5, v12, v9 op_sel:[0,1,0] op_sel_hi:[0,1,0]
	v_sub_f32_e32 v9, v15, v7
	v_fma_mix_f32 v5, v11, v13, v5 op_sel_hi:[0,1,0]
	v_cvt_f32_i32_sdwa v11, sext(v6) dst_sel:DWORD dst_unused:UNUSED_PAD src0_sel:BYTE_2
	v_cvt_f32_i32_sdwa v6, sext(v6) dst_sel:DWORD dst_unused:UNUSED_PAD src0_sel:BYTE_3
	v_fma_mix_f32 v5, v9, v13, v5 op_sel:[0,1,0] op_sel_hi:[0,1,0]
	v_sub_f32_e32 v9, v11, v7
	v_sub_f32_e32 v6, v6, v7
	v_fma_mix_f32 v5, v9, v14, v5 op_sel_hi:[0,1,0]
	v_fma_mix_f32 v9, v6, v14, v5 op_sel:[0,1,0] op_sel_hi:[0,1,0]
.LBB5_6:                                ;   in Loop: Header=BB5_4 Depth=1
	s_or_b32 exec_lo, exec_lo, s13
	v_add_nc_u32_e32 v5, s6, v3
	s_mov_b32 s13, exec_lo
	v_cmpx_gt_u32_e64 s4, v5
	s_cbranch_execz .LBB5_3
; %bb.7:                                ;   in Loop: Header=BB5_4 Depth=1
	v_add_nc_u32_e32 v11, v10, v3
	v_mov_b32_e32 v12, v4
	v_mov_b32_e32 v6, v4
	v_lshlrev_b64 v[11:12], 3, v[11:12]
	v_lshlrev_b64 v[5:6], 4, v[5:6]
	v_add_co_u32 v11, vcc_lo, s0, v11
	v_add_co_ci_u32_e64 v12, null, s1, v12, vcc_lo
	v_add_co_u32 v5, vcc_lo, s2, v5
	v_add_co_ci_u32_e64 v6, null, s3, v6, vcc_lo
	global_load_dwordx2 v[15:16], v[11:12], off
	global_load_dwordx4 v[11:14], v[5:6], off
	s_waitcnt vmcnt(1)
	v_cvt_f32_i32_sdwa v5, sext(v15) dst_sel:DWORD dst_unused:UNUSED_PAD src0_sel:BYTE_0
	v_cvt_f32_i32_sdwa v6, sext(v15) dst_sel:DWORD dst_unused:UNUSED_PAD src0_sel:BYTE_1
	v_cvt_f32_i32_sdwa v17, sext(v15) dst_sel:DWORD dst_unused:UNUSED_PAD src0_sel:BYTE_2
	v_sub_f32_e32 v5, v5, v7
	v_sub_f32_e32 v6, v6, v7
	s_waitcnt vmcnt(0)
	v_fma_mix_f32 v5, v5, v11, v9 op_sel_hi:[0,1,0]
	v_cvt_f32_i32_sdwa v9, sext(v15) dst_sel:DWORD dst_unused:UNUSED_PAD src0_sel:BYTE_3
	v_sub_f32_e32 v15, v17, v7
	v_fma_mix_f32 v5, v6, v11, v5 op_sel:[0,1,0] op_sel_hi:[0,1,0]
	v_cvt_f32_i32_sdwa v6, sext(v16) dst_sel:DWORD dst_unused:UNUSED_PAD src0_sel:BYTE_0
	v_sub_f32_e32 v9, v9, v7
	v_cvt_f32_i32_sdwa v11, sext(v16) dst_sel:DWORD dst_unused:UNUSED_PAD src0_sel:BYTE_1
	v_fma_mix_f32 v5, v15, v12, v5 op_sel_hi:[0,1,0]
	v_sub_f32_e32 v6, v6, v7
	v_fma_mix_f32 v5, v9, v12, v5 op_sel:[0,1,0] op_sel_hi:[0,1,0]
	v_sub_f32_e32 v9, v11, v7
	v_cvt_f32_i32_sdwa v11, sext(v16) dst_sel:DWORD dst_unused:UNUSED_PAD src0_sel:BYTE_3
	v_fma_mix_f32 v5, v6, v13, v5 op_sel_hi:[0,1,0]
	v_cvt_f32_i32_sdwa v6, sext(v16) dst_sel:DWORD dst_unused:UNUSED_PAD src0_sel:BYTE_2
	v_fma_mix_f32 v5, v9, v13, v5 op_sel:[0,1,0] op_sel_hi:[0,1,0]
	v_sub_f32_e32 v6, v6, v7
	v_sub_f32_e32 v9, v11, v7
	v_fma_mix_f32 v5, v6, v14, v5 op_sel_hi:[0,1,0]
	v_fma_mix_f32 v9, v9, v14, v5 op_sel:[0,1,0] op_sel_hi:[0,1,0]
	s_branch .LBB5_3
.LBB5_8:
	v_mov_b32_e32 v9, 0
	s_mov_b32 s5, 0
.LBB5_9:
	s_bitcmp0_b32 s11, 3
	s_cbranch_scc1 .LBB5_13
; %bb.10:
	v_mad_u64_u32 v[3:4], null, s5, s6, v[0:1]
	v_cmp_gt_u32_e32 vcc_lo, s4, v3
	s_and_saveexec_b32 s4, vcc_lo
	s_cbranch_execz .LBB5_12
; %bb.11:
	v_mov_b32_e32 v4, 0
	v_lshlrev_b64 v[5:6], 4, v[3:4]
	v_add_nc_u32_e32 v3, v3, v8
	v_lshlrev_b64 v[3:4], 3, v[3:4]
	v_add_co_u32 v3, vcc_lo, s0, v3
	v_add_co_ci_u32_e64 v4, null, s1, v4, vcc_lo
	global_load_dwordx2 v[10:11], v[3:4], off
	v_add_co_u32 v3, vcc_lo, s2, v5
	v_add_co_ci_u32_e64 v4, null, s3, v6, vcc_lo
	global_load_dwordx4 v[3:6], v[3:4], off
	s_waitcnt vmcnt(1)
	v_cvt_f32_i32_sdwa v8, sext(v10) dst_sel:DWORD dst_unused:UNUSED_PAD src0_sel:BYTE_0
	v_cvt_f32_i32_sdwa v12, sext(v10) dst_sel:DWORD dst_unused:UNUSED_PAD src0_sel:BYTE_1
	v_cvt_f32_i32_sdwa v13, sext(v10) dst_sel:DWORD dst_unused:UNUSED_PAD src0_sel:BYTE_2
	v_sub_f32_e32 v8, v8, v7
	v_sub_f32_e32 v12, v12, v7
	s_waitcnt vmcnt(0)
	v_fma_mix_f32 v8, v8, v3, v9 op_sel_hi:[0,1,0]
	v_cvt_f32_i32_sdwa v9, sext(v10) dst_sel:DWORD dst_unused:UNUSED_PAD src0_sel:BYTE_3
	v_sub_f32_e32 v10, v13, v7
	v_fma_mix_f32 v3, v12, v3, v8 op_sel:[0,1,0] op_sel_hi:[0,1,0]
	v_cvt_f32_i32_sdwa v8, sext(v11) dst_sel:DWORD dst_unused:UNUSED_PAD src0_sel:BYTE_0
	v_sub_f32_e32 v9, v9, v7
	v_fma_mix_f32 v3, v10, v4, v3 op_sel_hi:[0,1,0]
	v_cvt_f32_i32_sdwa v10, sext(v11) dst_sel:DWORD dst_unused:UNUSED_PAD src0_sel:BYTE_1
	v_sub_f32_e32 v8, v8, v7
	v_fma_mix_f32 v3, v9, v4, v3 op_sel:[0,1,0] op_sel_hi:[0,1,0]
	v_sub_f32_e32 v4, v10, v7
	v_cvt_f32_i32_sdwa v9, sext(v11) dst_sel:DWORD dst_unused:UNUSED_PAD src0_sel:BYTE_3
	v_fma_mix_f32 v3, v8, v5, v3 op_sel_hi:[0,1,0]
	v_cvt_f32_i32_sdwa v8, sext(v11) dst_sel:DWORD dst_unused:UNUSED_PAD src0_sel:BYTE_2
	v_fma_mix_f32 v3, v4, v5, v3 op_sel:[0,1,0] op_sel_hi:[0,1,0]
	v_sub_f32_e32 v4, v8, v7
	v_sub_f32_e32 v5, v9, v7
	v_fma_mix_f32 v3, v4, v6, v3 op_sel_hi:[0,1,0]
	v_fma_mix_f32 v9, v5, v6, v3 op_sel:[0,1,0] op_sel_hi:[0,1,0]
.LBB5_12:
	s_or_b32 exec_lo, exec_lo, s4
.LBB5_13:
	v_cvt_f32_f16_e32 v3, s10
	s_cmp_lt_u32 s6, 64
	v_mul_f32_e32 v4, v9, v3
	s_cbranch_scc0 .LBB5_34
; %bb.14:
	s_cmp_lt_u32 s6, 32
	s_cbranch_scc0 .LBB5_35
.LBB5_15:
	s_cmp_lt_u32 s6, 16
	s_cbranch_scc0 .LBB5_36
.LBB5_16:
	s_cmp_lt_u32 s6, 8
	s_cbranch_scc0 .LBB5_37
.LBB5_17:
	s_cmp_lt_u32 s6, 4
	s_cbranch_scc0 .LBB5_38
.LBB5_18:
	s_cmp_lt_u32 s6, 2
	s_cbranch_scc0 .LBB5_39
.LBB5_19:
	s_cmp_gt_u32 s6, 64
	s_cbranch_scc0 .LBB5_40
.LBB5_20:
	v_and_b32_e32 v5, 63, v0
	s_mov_b32 s0, exec_lo
	v_cmpx_eq_u32_e32 0, v5
; %bb.21:
	v_lshrrev_b32_e32 v3, 4, v0
	v_lshl_or_b32 v3, v1, 8, v3
	ds_write_b32 v3, v4
; %bb.22:
	s_or_b32 exec_lo, exec_lo, s0
	s_lshr_b32 s0, s6, 6
	v_mov_b32_e32 v3, 0
	v_cmp_gt_u32_e32 vcc_lo, s0, v0
	s_waitcnt lgkmcnt(0)
	s_barrier
	buffer_gl0_inv
	s_and_saveexec_b32 s0, vcc_lo
; %bb.23:
	v_lshlrev_b32_e32 v3, 2, v5
	v_lshl_or_b32 v1, v1, 8, v3
	ds_read_b32 v3, v1
; %bb.24:
	s_or_b32 exec_lo, exec_lo, s0
	s_mov_b32 s0, exec_lo
	v_cmpx_gt_u32_e32 64, v0
	s_cbranch_execz .LBB5_32
; %bb.25:
	v_mbcnt_lo_u32_b32 v1, -1, 0
	s_cmpk_lt_u32 s6, 0x1000
	s_cbranch_scc0 .LBB5_44
; %bb.26:
	s_cmpk_lt_u32 s6, 0x800
	s_cbranch_scc0 .LBB5_45
.LBB5_27:
	s_cmpk_lt_u32 s6, 0x400
	s_cbranch_scc0 .LBB5_46
.LBB5_28:
	s_cmpk_lt_u32 s6, 0x200
	s_cbranch_scc0 .LBB5_47
.LBB5_29:
	s_cmpk_lt_u32 s6, 0x100
	s_cbranch_scc0 .LBB5_48
.LBB5_30:
	s_cmpk_lt_u32 s6, 0x80
	s_cbranch_scc1 .LBB5_32
.LBB5_31:
	v_cmp_ne_u32_e32 vcc_lo, 31, v1
	v_add_co_ci_u32_e64 v1, null, 0, v1, vcc_lo
	v_lshlrev_b32_e32 v1, 2, v1
	s_waitcnt lgkmcnt(0)
	ds_bpermute_b32 v1, v1, v3
	s_waitcnt lgkmcnt(0)
	v_add_f32_e32 v3, v3, v1
.LBB5_32:
	s_or_b32 exec_lo, exec_lo, s0
	v_cmp_eq_u32_e64 s0, 0, v0
.LBB5_33:
	s_waitcnt lgkmcnt(0)
	v_mov_b32_e32 v4, v3
	s_and_saveexec_b32 s1, s0
	s_cbranch_execnz .LBB5_42
	s_branch .LBB5_43
.LBB5_34:
	v_mbcnt_lo_u32_b32 v3, -1, 0
	v_lshlrev_b32_e32 v3, 2, v3
	ds_bpermute_b32 v3, v3, v4
	s_waitcnt lgkmcnt(0)
	v_add_f32_e32 v4, v4, v3
	s_cmp_lt_u32 s6, 32
	s_cbranch_scc1 .LBB5_15
.LBB5_35:
	v_mbcnt_lo_u32_b32 v3, -1, 0
	v_lshl_or_b32 v3, v3, 2, 64
	ds_bpermute_b32 v3, v3, v4
	s_waitcnt lgkmcnt(0)
	v_add_f32_e32 v4, v4, v3
	s_cmp_lt_u32 s6, 16
	s_cbranch_scc1 .LBB5_16
.LBB5_36:
	v_mbcnt_lo_u32_b32 v3, -1, 0
	v_and_b32_e32 v5, 24, v3
	v_cmp_eq_u32_e32 vcc_lo, 24, v5
	v_cndmask_b32_e64 v5, 8, 0, vcc_lo
	v_add_lshl_u32 v3, v5, v3, 2
	ds_bpermute_b32 v3, v3, v4
	s_waitcnt lgkmcnt(0)
	v_add_f32_e32 v4, v4, v3
	s_cmp_lt_u32 s6, 8
	s_cbranch_scc1 .LBB5_17
.LBB5_37:
	v_mbcnt_lo_u32_b32 v3, -1, 0
	v_and_b32_e32 v5, 28, v3
	v_cmp_eq_u32_e32 vcc_lo, 28, v5
	v_cndmask_b32_e64 v5, 4, 0, vcc_lo
	v_add_lshl_u32 v3, v5, v3, 2
	ds_bpermute_b32 v3, v3, v4
	s_waitcnt lgkmcnt(0)
	v_add_f32_e32 v4, v4, v3
	s_cmp_lt_u32 s6, 4
	s_cbranch_scc1 .LBB5_18
.LBB5_38:
	v_mbcnt_lo_u32_b32 v3, -1, 0
	v_and_b32_e32 v5, 30, v3
	v_cmp_eq_u32_e32 vcc_lo, 30, v5
	v_cndmask_b32_e64 v5, 2, 0, vcc_lo
	v_add_lshl_u32 v3, v5, v3, 2
	ds_bpermute_b32 v3, v3, v4
	s_waitcnt lgkmcnt(0)
	v_add_f32_e32 v4, v4, v3
	s_cmp_lt_u32 s6, 2
	s_cbranch_scc1 .LBB5_19
.LBB5_39:
	v_mbcnt_lo_u32_b32 v3, -1, 0
	v_cmp_ne_u32_e32 vcc_lo, 31, v3
	v_add_co_ci_u32_e64 v3, null, 0, v3, vcc_lo
	v_lshlrev_b32_e32 v3, 2, v3
	ds_bpermute_b32 v3, v3, v4
	s_waitcnt lgkmcnt(0)
	v_add_f32_e32 v4, v4, v3
	s_cmp_gt_u32 s6, 64
	s_cbranch_scc1 .LBB5_20
.LBB5_40:
	s_mov_b32 s0, 0
                                        ; implicit-def: $vgpr3
	s_cbranch_execz .LBB5_33
; %bb.41:
	v_cmp_eq_u32_e32 vcc_lo, 0, v0
	s_andn2_b32 s0, s0, exec_lo
	s_and_b32 s1, vcc_lo, exec_lo
	s_or_b32 s0, s0, s1
	s_and_saveexec_b32 s1, s0
	s_cbranch_execz .LBB5_43
.LBB5_42:
	s_waitcnt lgkmcnt(0)
	v_mov_b32_e32 v3, 0
	v_lshlrev_b64 v[0:1], 1, v[2:3]
	v_cvt_f16_f32_e32 v2, v4
	v_add_co_u32 v0, vcc_lo, s8, v0
	v_add_co_ci_u32_e64 v1, null, s9, v1, vcc_lo
	global_store_short v[0:1], v2, off
.LBB5_43:
	s_endpgm
.LBB5_44:
	v_lshlrev_b32_e32 v5, 2, v1
	s_waitcnt lgkmcnt(0)
	ds_bpermute_b32 v5, v5, v3
	s_waitcnt lgkmcnt(0)
	v_add_f32_e32 v3, v3, v5
	s_cmpk_lt_u32 s6, 0x800
	s_cbranch_scc1 .LBB5_27
.LBB5_45:
	v_lshl_or_b32 v5, v1, 2, 64
	s_waitcnt lgkmcnt(0)
	ds_bpermute_b32 v5, v5, v3
	s_waitcnt lgkmcnt(0)
	v_add_f32_e32 v3, v3, v5
	s_cmpk_lt_u32 s6, 0x400
	s_cbranch_scc1 .LBB5_28
.LBB5_46:
	v_and_b32_e32 v5, 24, v1
	v_cmp_eq_u32_e32 vcc_lo, 24, v5
	v_cndmask_b32_e64 v5, 8, 0, vcc_lo
	v_add_lshl_u32 v5, v5, v1, 2
	s_waitcnt lgkmcnt(0)
	ds_bpermute_b32 v5, v5, v3
	s_waitcnt lgkmcnt(0)
	v_add_f32_e32 v3, v3, v5
	s_cmpk_lt_u32 s6, 0x200
	s_cbranch_scc1 .LBB5_29
.LBB5_47:
	v_and_b32_e32 v5, 28, v1
	v_cmp_eq_u32_e32 vcc_lo, 28, v5
	v_cndmask_b32_e64 v5, 4, 0, vcc_lo
	v_add_lshl_u32 v5, v5, v1, 2
	s_waitcnt lgkmcnt(0)
	ds_bpermute_b32 v5, v5, v3
	s_waitcnt lgkmcnt(0)
	v_add_f32_e32 v3, v3, v5
	s_cmpk_lt_u32 s6, 0x100
	s_cbranch_scc1 .LBB5_30
.LBB5_48:
	v_and_b32_e32 v5, 30, v1
	v_cmp_eq_u32_e32 vcc_lo, 30, v5
	v_cndmask_b32_e64 v5, 2, 0, vcc_lo
	v_add_lshl_u32 v5, v5, v1, 2
	s_waitcnt lgkmcnt(0)
	ds_bpermute_b32 v5, v5, v3
	s_waitcnt lgkmcnt(0)
	v_add_f32_e32 v3, v3, v5
	s_cmpk_lt_u32 s6, 0x80
	s_cbranch_scc0 .LBB5_31
	s_branch .LBB5_32
	.section	.rodata,"a",@progbits
	.p2align	6, 0x0
	.amdhsa_kernel _Z19gemv_quantized_int8ILj64EEvPaP6__halfS2_jS1_S1_j
		.amdhsa_group_segment_fixed_size 16384
		.amdhsa_private_segment_fixed_size 0
		.amdhsa_kernarg_size 296
		.amdhsa_user_sgpr_count 6
		.amdhsa_user_sgpr_private_segment_buffer 1
		.amdhsa_user_sgpr_dispatch_ptr 0
		.amdhsa_user_sgpr_queue_ptr 0
		.amdhsa_user_sgpr_kernarg_segment_ptr 1
		.amdhsa_user_sgpr_dispatch_id 0
		.amdhsa_user_sgpr_flat_scratch_init 0
		.amdhsa_user_sgpr_private_segment_size 0
		.amdhsa_wavefront_size32 1
		.amdhsa_uses_dynamic_stack 0
		.amdhsa_system_sgpr_private_segment_wavefront_offset 0
		.amdhsa_system_sgpr_workgroup_id_x 1
		.amdhsa_system_sgpr_workgroup_id_y 1
		.amdhsa_system_sgpr_workgroup_id_z 0
		.amdhsa_system_sgpr_workgroup_info 0
		.amdhsa_system_vgpr_workitem_id 1
		.amdhsa_next_free_vgpr 18
		.amdhsa_next_free_sgpr 14
		.amdhsa_reserve_vcc 1
		.amdhsa_reserve_flat_scratch 0
		.amdhsa_float_round_mode_32 0
		.amdhsa_float_round_mode_16_64 0
		.amdhsa_float_denorm_mode_32 3
		.amdhsa_float_denorm_mode_16_64 3
		.amdhsa_dx10_clamp 1
		.amdhsa_ieee_mode 1
		.amdhsa_fp16_overflow 0
		.amdhsa_workgroup_processor_mode 1
		.amdhsa_memory_ordered 1
		.amdhsa_forward_progress 1
		.amdhsa_shared_vgpr_count 0
		.amdhsa_exception_fp_ieee_invalid_op 0
		.amdhsa_exception_fp_denorm_src 0
		.amdhsa_exception_fp_ieee_div_zero 0
		.amdhsa_exception_fp_ieee_overflow 0
		.amdhsa_exception_fp_ieee_underflow 0
		.amdhsa_exception_fp_ieee_inexact 0
		.amdhsa_exception_int_div_zero 0
	.end_amdhsa_kernel
	.section	.text._Z19gemv_quantized_int8ILj64EEvPaP6__halfS2_jS1_S1_j,"axG",@progbits,_Z19gemv_quantized_int8ILj64EEvPaP6__halfS2_jS1_S1_j,comdat
.Lfunc_end5:
	.size	_Z19gemv_quantized_int8ILj64EEvPaP6__halfS2_jS1_S1_j, .Lfunc_end5-_Z19gemv_quantized_int8ILj64EEvPaP6__halfS2_jS1_S1_j
                                        ; -- End function
	.set _Z19gemv_quantized_int8ILj64EEvPaP6__halfS2_jS1_S1_j.num_vgpr, 18
	.set _Z19gemv_quantized_int8ILj64EEvPaP6__halfS2_jS1_S1_j.num_agpr, 0
	.set _Z19gemv_quantized_int8ILj64EEvPaP6__halfS2_jS1_S1_j.numbered_sgpr, 14
	.set _Z19gemv_quantized_int8ILj64EEvPaP6__halfS2_jS1_S1_j.num_named_barrier, 0
	.set _Z19gemv_quantized_int8ILj64EEvPaP6__halfS2_jS1_S1_j.private_seg_size, 0
	.set _Z19gemv_quantized_int8ILj64EEvPaP6__halfS2_jS1_S1_j.uses_vcc, 1
	.set _Z19gemv_quantized_int8ILj64EEvPaP6__halfS2_jS1_S1_j.uses_flat_scratch, 0
	.set _Z19gemv_quantized_int8ILj64EEvPaP6__halfS2_jS1_S1_j.has_dyn_sized_stack, 0
	.set _Z19gemv_quantized_int8ILj64EEvPaP6__halfS2_jS1_S1_j.has_recursion, 0
	.set _Z19gemv_quantized_int8ILj64EEvPaP6__halfS2_jS1_S1_j.has_indirect_call, 0
	.section	.AMDGPU.csdata,"",@progbits
; Kernel info:
; codeLenInByte = 1872
; TotalNumSgprs: 16
; NumVgprs: 18
; ScratchSize: 0
; MemoryBound: 0
; FloatMode: 240
; IeeeMode: 1
; LDSByteSize: 16384 bytes/workgroup (compile time only)
; SGPRBlocks: 0
; VGPRBlocks: 2
; NumSGPRsForWavesPerEU: 16
; NumVGPRsForWavesPerEU: 18
; Occupancy: 16
; WaveLimiterHint : 0
; COMPUTE_PGM_RSRC2:SCRATCH_EN: 0
; COMPUTE_PGM_RSRC2:USER_SGPR: 6
; COMPUTE_PGM_RSRC2:TRAP_HANDLER: 0
; COMPUTE_PGM_RSRC2:TGID_X_EN: 1
; COMPUTE_PGM_RSRC2:TGID_Y_EN: 1
; COMPUTE_PGM_RSRC2:TGID_Z_EN: 0
; COMPUTE_PGM_RSRC2:TIDIG_COMP_CNT: 1
	.section	.text._Z19gemv_quantized_int8ILj32EEvPaP6__halfS2_jS1_S1_j,"axG",@progbits,_Z19gemv_quantized_int8ILj32EEvPaP6__halfS2_jS1_S1_j,comdat
	.protected	_Z19gemv_quantized_int8ILj32EEvPaP6__halfS2_jS1_S1_j ; -- Begin function _Z19gemv_quantized_int8ILj32EEvPaP6__halfS2_jS1_S1_j
	.globl	_Z19gemv_quantized_int8ILj32EEvPaP6__halfS2_jS1_S1_j
	.p2align	8
	.type	_Z19gemv_quantized_int8ILj32EEvPaP6__halfS2_jS1_S1_j,@function
_Z19gemv_quantized_int8ILj32EEvPaP6__halfS2_jS1_S1_j: ; @_Z19gemv_quantized_int8ILj32EEvPaP6__halfS2_jS1_S1_j
; %bb.0:
	s_clause 0x3
	s_load_dword s6, s[4:5], 0x34
	s_load_dwordx2 s[10:11], s[4:5], 0x1c
	s_load_dwordx4 s[0:3], s[4:5], 0x0
	s_load_dwordx2 s[8:9], s[4:5], 0x10
	v_mov_b32_e32 v9, 0
	s_waitcnt lgkmcnt(0)
	s_lshr_b32 s12, s6, 16
	s_and_b32 s6, s6, 0xffff
	v_mad_u64_u32 v[2:3], null, s7, s12, v[1:2]
	s_cmp_lt_u32 s11, 8
	s_cbranch_scc1 .LBB6_13
; %bb.1:
	s_load_dword s4, s[4:5], 0x18
	s_lshr_b32 s7, s10, 16
	s_lshr_b32 s5, s11, 3
	v_cvt_f32_f16_e32 v7, s7
	s_waitcnt lgkmcnt(0)
	s_lshr_b32 s4, s4, 3
	s_cmp_eq_u32 s5, 1
	v_mul_lo_u32 v8, v2, s4
	s_cbranch_scc1 .LBB6_8
; %bb.2:
	v_mov_b32_e32 v4, 0
	v_add_nc_u32_e32 v10, s6, v8
	v_mov_b32_e32 v3, v0
	s_and_b32 s5, s5, 0x1ffffffe
	s_lshl_b32 s7, s6, 1
	v_mov_b32_e32 v9, v4
	s_mov_b32 s12, 0
	s_branch .LBB6_4
.LBB6_3:                                ;   in Loop: Header=BB6_4 Depth=1
	s_or_b32 exec_lo, exec_lo, s13
	v_add_nc_u32_e32 v3, s7, v3
	s_add_i32 s12, s12, 2
	s_cmp_eq_u32 s5, s12
	s_cbranch_scc1 .LBB6_9
.LBB6_4:                                ; =>This Inner Loop Header: Depth=1
	s_mov_b32 s13, exec_lo
	v_cmpx_gt_u32_e64 s4, v3
	s_cbranch_execz .LBB6_6
; %bb.5:                                ;   in Loop: Header=BB6_4 Depth=1
	v_add_nc_u32_e32 v5, v8, v3
	v_mov_b32_e32 v6, v4
	v_lshlrev_b64 v[11:12], 4, v[3:4]
	v_lshlrev_b64 v[5:6], 3, v[5:6]
	v_add_co_u32 v5, vcc_lo, s0, v5
	v_add_co_ci_u32_e64 v6, null, s1, v6, vcc_lo
	v_add_co_u32 v11, vcc_lo, s2, v11
	v_add_co_ci_u32_e64 v12, null, s3, v12, vcc_lo
	global_load_dwordx2 v[5:6], v[5:6], off
	global_load_dwordx4 v[11:14], v[11:12], off
	s_waitcnt vmcnt(1)
	v_cvt_f32_i32_sdwa v15, sext(v5) dst_sel:DWORD dst_unused:UNUSED_PAD src0_sel:BYTE_0
	v_cvt_f32_i32_sdwa v16, sext(v5) dst_sel:DWORD dst_unused:UNUSED_PAD src0_sel:BYTE_1
	v_cvt_f32_i32_sdwa v17, sext(v5) dst_sel:DWORD dst_unused:UNUSED_PAD src0_sel:BYTE_2
	v_cvt_f32_i32_sdwa v5, sext(v5) dst_sel:DWORD dst_unused:UNUSED_PAD src0_sel:BYTE_3
	v_sub_f32_e32 v15, v15, v7
	v_sub_f32_e32 v16, v16, v7
	;; [unrolled: 1-line block ×3, first 2 shown]
	s_waitcnt vmcnt(0)
	v_fma_mix_f32 v9, v15, v11, v9 op_sel_hi:[0,1,0]
	v_sub_f32_e32 v15, v17, v7
	v_fma_mix_f32 v9, v16, v11, v9 op_sel:[0,1,0] op_sel_hi:[0,1,0]
	v_cvt_f32_i32_sdwa v11, sext(v6) dst_sel:DWORD dst_unused:UNUSED_PAD src0_sel:BYTE_0
	v_fma_mix_f32 v9, v15, v12, v9 op_sel_hi:[0,1,0]
	v_cvt_f32_i32_sdwa v15, sext(v6) dst_sel:DWORD dst_unused:UNUSED_PAD src0_sel:BYTE_1
	v_sub_f32_e32 v11, v11, v7
	v_fma_mix_f32 v5, v5, v12, v9 op_sel:[0,1,0] op_sel_hi:[0,1,0]
	v_sub_f32_e32 v9, v15, v7
	v_fma_mix_f32 v5, v11, v13, v5 op_sel_hi:[0,1,0]
	v_cvt_f32_i32_sdwa v11, sext(v6) dst_sel:DWORD dst_unused:UNUSED_PAD src0_sel:BYTE_2
	v_cvt_f32_i32_sdwa v6, sext(v6) dst_sel:DWORD dst_unused:UNUSED_PAD src0_sel:BYTE_3
	v_fma_mix_f32 v5, v9, v13, v5 op_sel:[0,1,0] op_sel_hi:[0,1,0]
	v_sub_f32_e32 v9, v11, v7
	v_sub_f32_e32 v6, v6, v7
	v_fma_mix_f32 v5, v9, v14, v5 op_sel_hi:[0,1,0]
	v_fma_mix_f32 v9, v6, v14, v5 op_sel:[0,1,0] op_sel_hi:[0,1,0]
.LBB6_6:                                ;   in Loop: Header=BB6_4 Depth=1
	s_or_b32 exec_lo, exec_lo, s13
	v_add_nc_u32_e32 v5, s6, v3
	s_mov_b32 s13, exec_lo
	v_cmpx_gt_u32_e64 s4, v5
	s_cbranch_execz .LBB6_3
; %bb.7:                                ;   in Loop: Header=BB6_4 Depth=1
	v_add_nc_u32_e32 v11, v10, v3
	v_mov_b32_e32 v12, v4
	v_mov_b32_e32 v6, v4
	v_lshlrev_b64 v[11:12], 3, v[11:12]
	v_lshlrev_b64 v[5:6], 4, v[5:6]
	v_add_co_u32 v11, vcc_lo, s0, v11
	v_add_co_ci_u32_e64 v12, null, s1, v12, vcc_lo
	v_add_co_u32 v5, vcc_lo, s2, v5
	v_add_co_ci_u32_e64 v6, null, s3, v6, vcc_lo
	global_load_dwordx2 v[15:16], v[11:12], off
	global_load_dwordx4 v[11:14], v[5:6], off
	s_waitcnt vmcnt(1)
	v_cvt_f32_i32_sdwa v5, sext(v15) dst_sel:DWORD dst_unused:UNUSED_PAD src0_sel:BYTE_0
	v_cvt_f32_i32_sdwa v6, sext(v15) dst_sel:DWORD dst_unused:UNUSED_PAD src0_sel:BYTE_1
	v_cvt_f32_i32_sdwa v17, sext(v15) dst_sel:DWORD dst_unused:UNUSED_PAD src0_sel:BYTE_2
	v_sub_f32_e32 v5, v5, v7
	v_sub_f32_e32 v6, v6, v7
	s_waitcnt vmcnt(0)
	v_fma_mix_f32 v5, v5, v11, v9 op_sel_hi:[0,1,0]
	v_cvt_f32_i32_sdwa v9, sext(v15) dst_sel:DWORD dst_unused:UNUSED_PAD src0_sel:BYTE_3
	v_sub_f32_e32 v15, v17, v7
	v_fma_mix_f32 v5, v6, v11, v5 op_sel:[0,1,0] op_sel_hi:[0,1,0]
	v_cvt_f32_i32_sdwa v6, sext(v16) dst_sel:DWORD dst_unused:UNUSED_PAD src0_sel:BYTE_0
	v_sub_f32_e32 v9, v9, v7
	v_cvt_f32_i32_sdwa v11, sext(v16) dst_sel:DWORD dst_unused:UNUSED_PAD src0_sel:BYTE_1
	v_fma_mix_f32 v5, v15, v12, v5 op_sel_hi:[0,1,0]
	v_sub_f32_e32 v6, v6, v7
	v_fma_mix_f32 v5, v9, v12, v5 op_sel:[0,1,0] op_sel_hi:[0,1,0]
	v_sub_f32_e32 v9, v11, v7
	v_cvt_f32_i32_sdwa v11, sext(v16) dst_sel:DWORD dst_unused:UNUSED_PAD src0_sel:BYTE_3
	v_fma_mix_f32 v5, v6, v13, v5 op_sel_hi:[0,1,0]
	v_cvt_f32_i32_sdwa v6, sext(v16) dst_sel:DWORD dst_unused:UNUSED_PAD src0_sel:BYTE_2
	v_fma_mix_f32 v5, v9, v13, v5 op_sel:[0,1,0] op_sel_hi:[0,1,0]
	v_sub_f32_e32 v6, v6, v7
	v_sub_f32_e32 v9, v11, v7
	v_fma_mix_f32 v5, v6, v14, v5 op_sel_hi:[0,1,0]
	v_fma_mix_f32 v9, v9, v14, v5 op_sel:[0,1,0] op_sel_hi:[0,1,0]
	s_branch .LBB6_3
.LBB6_8:
	v_mov_b32_e32 v9, 0
	s_mov_b32 s5, 0
.LBB6_9:
	s_bitcmp0_b32 s11, 3
	s_cbranch_scc1 .LBB6_13
; %bb.10:
	v_mad_u64_u32 v[3:4], null, s5, s6, v[0:1]
	v_cmp_gt_u32_e32 vcc_lo, s4, v3
	s_and_saveexec_b32 s4, vcc_lo
	s_cbranch_execz .LBB6_12
; %bb.11:
	v_mov_b32_e32 v4, 0
	v_lshlrev_b64 v[5:6], 4, v[3:4]
	v_add_nc_u32_e32 v3, v3, v8
	v_lshlrev_b64 v[3:4], 3, v[3:4]
	v_add_co_u32 v3, vcc_lo, s0, v3
	v_add_co_ci_u32_e64 v4, null, s1, v4, vcc_lo
	global_load_dwordx2 v[10:11], v[3:4], off
	v_add_co_u32 v3, vcc_lo, s2, v5
	v_add_co_ci_u32_e64 v4, null, s3, v6, vcc_lo
	global_load_dwordx4 v[3:6], v[3:4], off
	s_waitcnt vmcnt(1)
	v_cvt_f32_i32_sdwa v8, sext(v10) dst_sel:DWORD dst_unused:UNUSED_PAD src0_sel:BYTE_0
	v_cvt_f32_i32_sdwa v12, sext(v10) dst_sel:DWORD dst_unused:UNUSED_PAD src0_sel:BYTE_1
	v_cvt_f32_i32_sdwa v13, sext(v10) dst_sel:DWORD dst_unused:UNUSED_PAD src0_sel:BYTE_2
	v_sub_f32_e32 v8, v8, v7
	v_sub_f32_e32 v12, v12, v7
	s_waitcnt vmcnt(0)
	v_fma_mix_f32 v8, v8, v3, v9 op_sel_hi:[0,1,0]
	v_cvt_f32_i32_sdwa v9, sext(v10) dst_sel:DWORD dst_unused:UNUSED_PAD src0_sel:BYTE_3
	v_sub_f32_e32 v10, v13, v7
	v_fma_mix_f32 v3, v12, v3, v8 op_sel:[0,1,0] op_sel_hi:[0,1,0]
	v_cvt_f32_i32_sdwa v8, sext(v11) dst_sel:DWORD dst_unused:UNUSED_PAD src0_sel:BYTE_0
	v_sub_f32_e32 v9, v9, v7
	v_fma_mix_f32 v3, v10, v4, v3 op_sel_hi:[0,1,0]
	v_cvt_f32_i32_sdwa v10, sext(v11) dst_sel:DWORD dst_unused:UNUSED_PAD src0_sel:BYTE_1
	v_sub_f32_e32 v8, v8, v7
	v_fma_mix_f32 v3, v9, v4, v3 op_sel:[0,1,0] op_sel_hi:[0,1,0]
	v_sub_f32_e32 v4, v10, v7
	v_cvt_f32_i32_sdwa v9, sext(v11) dst_sel:DWORD dst_unused:UNUSED_PAD src0_sel:BYTE_3
	v_fma_mix_f32 v3, v8, v5, v3 op_sel_hi:[0,1,0]
	v_cvt_f32_i32_sdwa v8, sext(v11) dst_sel:DWORD dst_unused:UNUSED_PAD src0_sel:BYTE_2
	v_fma_mix_f32 v3, v4, v5, v3 op_sel:[0,1,0] op_sel_hi:[0,1,0]
	v_sub_f32_e32 v4, v8, v7
	v_sub_f32_e32 v5, v9, v7
	v_fma_mix_f32 v3, v4, v6, v3 op_sel_hi:[0,1,0]
	v_fma_mix_f32 v9, v5, v6, v3 op_sel:[0,1,0] op_sel_hi:[0,1,0]
.LBB6_12:
	s_or_b32 exec_lo, exec_lo, s4
.LBB6_13:
	v_cvt_f32_f16_e32 v3, s10
	s_cmp_gt_u32 s6, 63
	s_cselect_b32 s0, -1, 0
	s_cmp_lt_u32 s6, 64
	v_mul_f32_e32 v4, v9, v3
	s_cbranch_scc0 .LBB6_34
; %bb.14:
	s_cmp_lt_u32 s6, 32
	s_cbranch_scc0 .LBB6_35
.LBB6_15:
	s_cmp_lt_u32 s6, 16
	s_cbranch_scc0 .LBB6_36
.LBB6_16:
	s_cmp_lt_u32 s6, 8
	s_cbranch_scc0 .LBB6_37
.LBB6_17:
	s_cmp_lt_u32 s6, 4
	s_cbranch_scc0 .LBB6_38
.LBB6_18:
	s_cmp_lt_u32 s6, 2
	s_cbranch_scc0 .LBB6_39
.LBB6_19:
	s_cmp_gt_u32 s6, 32
	s_cbranch_scc0 .LBB6_40
.LBB6_20:
	v_and_b32_e32 v5, 31, v0
	s_mov_b32 s1, exec_lo
	v_cmpx_eq_u32_e32 0, v5
; %bb.21:
	v_lshrrev_b32_e32 v3, 3, v0
	v_lshl_or_b32 v3, v1, 7, v3
	ds_write_b32 v3, v4
; %bb.22:
	s_or_b32 exec_lo, exec_lo, s1
	s_lshr_b32 s1, s6, 5
	v_mov_b32_e32 v3, 0
	v_cmp_gt_u32_e32 vcc_lo, s1, v0
	s_waitcnt lgkmcnt(0)
	s_barrier
	buffer_gl0_inv
	s_and_saveexec_b32 s1, vcc_lo
; %bb.23:
	v_lshlrev_b32_e32 v3, 2, v5
	v_lshl_or_b32 v1, v1, 7, v3
	ds_read_b32 v3, v1
; %bb.24:
	s_or_b32 exec_lo, exec_lo, s1
	s_mov_b32 s1, exec_lo
	v_cmpx_gt_u32_e32 32, v0
	s_cbranch_execz .LBB6_32
; %bb.25:
	v_mbcnt_lo_u32_b32 v1, -1, 0
	s_cmpk_lt_u32 s6, 0x800
	s_cbranch_scc0 .LBB6_44
; %bb.26:
	s_cmpk_lt_u32 s6, 0x400
	s_cbranch_scc0 .LBB6_45
.LBB6_27:
	s_cmpk_lt_u32 s6, 0x200
	s_cbranch_scc0 .LBB6_46
.LBB6_28:
	s_cmpk_lt_u32 s6, 0x100
	s_cbranch_scc0 .LBB6_47
.LBB6_29:
	s_cmpk_lt_u32 s6, 0x80
	s_cbranch_scc0 .LBB6_48
.LBB6_30:
	s_andn2_b32 vcc_lo, exec_lo, s0
	s_cbranch_vccnz .LBB6_32
.LBB6_31:
	v_cmp_ne_u32_e32 vcc_lo, 31, v1
	v_add_co_ci_u32_e64 v1, null, 0, v1, vcc_lo
	v_lshlrev_b32_e32 v1, 2, v1
	s_waitcnt lgkmcnt(0)
	ds_bpermute_b32 v1, v1, v3
	s_waitcnt lgkmcnt(0)
	v_add_f32_e32 v3, v3, v1
.LBB6_32:
	s_or_b32 exec_lo, exec_lo, s1
	v_cmp_eq_u32_e64 s0, 0, v0
.LBB6_33:
	s_waitcnt lgkmcnt(0)
	v_mov_b32_e32 v4, v3
	s_and_saveexec_b32 s1, s0
	s_cbranch_execnz .LBB6_42
	s_branch .LBB6_43
.LBB6_34:
	v_mbcnt_lo_u32_b32 v3, -1, 0
	v_lshlrev_b32_e32 v3, 2, v3
	ds_bpermute_b32 v3, v3, v4
	s_waitcnt lgkmcnt(0)
	v_add_f32_e32 v4, v4, v3
	s_cmp_lt_u32 s6, 32
	s_cbranch_scc1 .LBB6_15
.LBB6_35:
	v_mbcnt_lo_u32_b32 v3, -1, 0
	v_lshl_or_b32 v3, v3, 2, 64
	ds_bpermute_b32 v3, v3, v4
	s_waitcnt lgkmcnt(0)
	v_add_f32_e32 v4, v4, v3
	s_cmp_lt_u32 s6, 16
	s_cbranch_scc1 .LBB6_16
.LBB6_36:
	v_mbcnt_lo_u32_b32 v3, -1, 0
	v_and_b32_e32 v5, 24, v3
	v_cmp_eq_u32_e32 vcc_lo, 24, v5
	v_cndmask_b32_e64 v5, 8, 0, vcc_lo
	v_add_lshl_u32 v3, v5, v3, 2
	ds_bpermute_b32 v3, v3, v4
	s_waitcnt lgkmcnt(0)
	v_add_f32_e32 v4, v4, v3
	s_cmp_lt_u32 s6, 8
	s_cbranch_scc1 .LBB6_17
.LBB6_37:
	v_mbcnt_lo_u32_b32 v3, -1, 0
	v_and_b32_e32 v5, 28, v3
	v_cmp_eq_u32_e32 vcc_lo, 28, v5
	v_cndmask_b32_e64 v5, 4, 0, vcc_lo
	v_add_lshl_u32 v3, v5, v3, 2
	ds_bpermute_b32 v3, v3, v4
	s_waitcnt lgkmcnt(0)
	v_add_f32_e32 v4, v4, v3
	s_cmp_lt_u32 s6, 4
	s_cbranch_scc1 .LBB6_18
.LBB6_38:
	v_mbcnt_lo_u32_b32 v3, -1, 0
	v_and_b32_e32 v5, 30, v3
	v_cmp_eq_u32_e32 vcc_lo, 30, v5
	v_cndmask_b32_e64 v5, 2, 0, vcc_lo
	v_add_lshl_u32 v3, v5, v3, 2
	ds_bpermute_b32 v3, v3, v4
	s_waitcnt lgkmcnt(0)
	v_add_f32_e32 v4, v4, v3
	s_cmp_lt_u32 s6, 2
	s_cbranch_scc1 .LBB6_19
.LBB6_39:
	v_mbcnt_lo_u32_b32 v3, -1, 0
	v_cmp_ne_u32_e32 vcc_lo, 31, v3
	v_add_co_ci_u32_e64 v3, null, 0, v3, vcc_lo
	v_lshlrev_b32_e32 v3, 2, v3
	ds_bpermute_b32 v3, v3, v4
	s_waitcnt lgkmcnt(0)
	v_add_f32_e32 v4, v4, v3
	s_cmp_gt_u32 s6, 32
	s_cbranch_scc1 .LBB6_20
.LBB6_40:
	s_mov_b32 s0, 0
                                        ; implicit-def: $vgpr3
	s_cbranch_execz .LBB6_33
; %bb.41:
	v_cmp_eq_u32_e32 vcc_lo, 0, v0
	s_andn2_b32 s0, s0, exec_lo
	s_and_b32 s1, vcc_lo, exec_lo
	s_or_b32 s0, s0, s1
	s_and_saveexec_b32 s1, s0
	s_cbranch_execz .LBB6_43
.LBB6_42:
	s_waitcnt lgkmcnt(0)
	v_mov_b32_e32 v3, 0
	v_lshlrev_b64 v[0:1], 1, v[2:3]
	v_cvt_f16_f32_e32 v2, v4
	v_add_co_u32 v0, vcc_lo, s8, v0
	v_add_co_ci_u32_e64 v1, null, s9, v1, vcc_lo
	global_store_short v[0:1], v2, off
.LBB6_43:
	s_endpgm
.LBB6_44:
	v_lshlrev_b32_e32 v5, 2, v1
	s_waitcnt lgkmcnt(0)
	ds_bpermute_b32 v5, v5, v3
	s_waitcnt lgkmcnt(0)
	v_add_f32_e32 v3, v3, v5
	s_cmpk_lt_u32 s6, 0x400
	s_cbranch_scc1 .LBB6_27
.LBB6_45:
	v_lshl_or_b32 v5, v1, 2, 64
	s_waitcnt lgkmcnt(0)
	ds_bpermute_b32 v5, v5, v3
	s_waitcnt lgkmcnt(0)
	v_add_f32_e32 v3, v3, v5
	s_cmpk_lt_u32 s6, 0x200
	s_cbranch_scc1 .LBB6_28
.LBB6_46:
	v_and_b32_e32 v5, 24, v1
	v_cmp_eq_u32_e32 vcc_lo, 24, v5
	v_cndmask_b32_e64 v5, 8, 0, vcc_lo
	v_add_lshl_u32 v5, v5, v1, 2
	s_waitcnt lgkmcnt(0)
	ds_bpermute_b32 v5, v5, v3
	s_waitcnt lgkmcnt(0)
	v_add_f32_e32 v3, v3, v5
	s_cmpk_lt_u32 s6, 0x100
	s_cbranch_scc1 .LBB6_29
.LBB6_47:
	v_and_b32_e32 v5, 28, v1
	v_cmp_eq_u32_e32 vcc_lo, 28, v5
	v_cndmask_b32_e64 v5, 4, 0, vcc_lo
	v_add_lshl_u32 v5, v5, v1, 2
	s_waitcnt lgkmcnt(0)
	ds_bpermute_b32 v5, v5, v3
	s_waitcnt lgkmcnt(0)
	v_add_f32_e32 v3, v3, v5
	s_cmpk_lt_u32 s6, 0x80
	s_cbranch_scc1 .LBB6_30
.LBB6_48:
	v_and_b32_e32 v5, 30, v1
	v_cmp_eq_u32_e32 vcc_lo, 30, v5
	v_cndmask_b32_e64 v5, 2, 0, vcc_lo
	v_add_lshl_u32 v5, v5, v1, 2
	s_waitcnt lgkmcnt(0)
	ds_bpermute_b32 v5, v5, v3
	s_waitcnt lgkmcnt(0)
	v_add_f32_e32 v3, v3, v5
	s_andn2_b32 vcc_lo, exec_lo, s0
	s_cbranch_vccz .LBB6_31
	s_branch .LBB6_32
	.section	.rodata,"a",@progbits
	.p2align	6, 0x0
	.amdhsa_kernel _Z19gemv_quantized_int8ILj32EEvPaP6__halfS2_jS1_S1_j
		.amdhsa_group_segment_fixed_size 8192
		.amdhsa_private_segment_fixed_size 0
		.amdhsa_kernarg_size 296
		.amdhsa_user_sgpr_count 6
		.amdhsa_user_sgpr_private_segment_buffer 1
		.amdhsa_user_sgpr_dispatch_ptr 0
		.amdhsa_user_sgpr_queue_ptr 0
		.amdhsa_user_sgpr_kernarg_segment_ptr 1
		.amdhsa_user_sgpr_dispatch_id 0
		.amdhsa_user_sgpr_flat_scratch_init 0
		.amdhsa_user_sgpr_private_segment_size 0
		.amdhsa_wavefront_size32 1
		.amdhsa_uses_dynamic_stack 0
		.amdhsa_system_sgpr_private_segment_wavefront_offset 0
		.amdhsa_system_sgpr_workgroup_id_x 1
		.amdhsa_system_sgpr_workgroup_id_y 1
		.amdhsa_system_sgpr_workgroup_id_z 0
		.amdhsa_system_sgpr_workgroup_info 0
		.amdhsa_system_vgpr_workitem_id 1
		.amdhsa_next_free_vgpr 18
		.amdhsa_next_free_sgpr 14
		.amdhsa_reserve_vcc 1
		.amdhsa_reserve_flat_scratch 0
		.amdhsa_float_round_mode_32 0
		.amdhsa_float_round_mode_16_64 0
		.amdhsa_float_denorm_mode_32 3
		.amdhsa_float_denorm_mode_16_64 3
		.amdhsa_dx10_clamp 1
		.amdhsa_ieee_mode 1
		.amdhsa_fp16_overflow 0
		.amdhsa_workgroup_processor_mode 1
		.amdhsa_memory_ordered 1
		.amdhsa_forward_progress 1
		.amdhsa_shared_vgpr_count 0
		.amdhsa_exception_fp_ieee_invalid_op 0
		.amdhsa_exception_fp_denorm_src 0
		.amdhsa_exception_fp_ieee_div_zero 0
		.amdhsa_exception_fp_ieee_overflow 0
		.amdhsa_exception_fp_ieee_underflow 0
		.amdhsa_exception_fp_ieee_inexact 0
		.amdhsa_exception_int_div_zero 0
	.end_amdhsa_kernel
	.section	.text._Z19gemv_quantized_int8ILj32EEvPaP6__halfS2_jS1_S1_j,"axG",@progbits,_Z19gemv_quantized_int8ILj32EEvPaP6__halfS2_jS1_S1_j,comdat
.Lfunc_end6:
	.size	_Z19gemv_quantized_int8ILj32EEvPaP6__halfS2_jS1_S1_j, .Lfunc_end6-_Z19gemv_quantized_int8ILj32EEvPaP6__halfS2_jS1_S1_j
                                        ; -- End function
	.set _Z19gemv_quantized_int8ILj32EEvPaP6__halfS2_jS1_S1_j.num_vgpr, 18
	.set _Z19gemv_quantized_int8ILj32EEvPaP6__halfS2_jS1_S1_j.num_agpr, 0
	.set _Z19gemv_quantized_int8ILj32EEvPaP6__halfS2_jS1_S1_j.numbered_sgpr, 14
	.set _Z19gemv_quantized_int8ILj32EEvPaP6__halfS2_jS1_S1_j.num_named_barrier, 0
	.set _Z19gemv_quantized_int8ILj32EEvPaP6__halfS2_jS1_S1_j.private_seg_size, 0
	.set _Z19gemv_quantized_int8ILj32EEvPaP6__halfS2_jS1_S1_j.uses_vcc, 1
	.set _Z19gemv_quantized_int8ILj32EEvPaP6__halfS2_jS1_S1_j.uses_flat_scratch, 0
	.set _Z19gemv_quantized_int8ILj32EEvPaP6__halfS2_jS1_S1_j.has_dyn_sized_stack, 0
	.set _Z19gemv_quantized_int8ILj32EEvPaP6__halfS2_jS1_S1_j.has_recursion, 0
	.set _Z19gemv_quantized_int8ILj32EEvPaP6__halfS2_jS1_S1_j.has_indirect_call, 0
	.section	.AMDGPU.csdata,"",@progbits
; Kernel info:
; codeLenInByte = 1880
; TotalNumSgprs: 16
; NumVgprs: 18
; ScratchSize: 0
; MemoryBound: 0
; FloatMode: 240
; IeeeMode: 1
; LDSByteSize: 8192 bytes/workgroup (compile time only)
; SGPRBlocks: 0
; VGPRBlocks: 2
; NumSGPRsForWavesPerEU: 16
; NumVGPRsForWavesPerEU: 18
; Occupancy: 16
; WaveLimiterHint : 0
; COMPUTE_PGM_RSRC2:SCRATCH_EN: 0
; COMPUTE_PGM_RSRC2:USER_SGPR: 6
; COMPUTE_PGM_RSRC2:TRAP_HANDLER: 0
; COMPUTE_PGM_RSRC2:TGID_X_EN: 1
; COMPUTE_PGM_RSRC2:TGID_Y_EN: 1
; COMPUTE_PGM_RSRC2:TGID_Z_EN: 0
; COMPUTE_PGM_RSRC2:TIDIG_COMP_CNT: 1
	.section	.text._Z9gemv_fp16ILj64EEvP6__halfS1_S1_jj,"axG",@progbits,_Z9gemv_fp16ILj64EEvP6__halfS1_S1_jj,comdat
	.protected	_Z9gemv_fp16ILj64EEvP6__halfS1_S1_jj ; -- Begin function _Z9gemv_fp16ILj64EEvP6__halfS1_S1_jj
	.globl	_Z9gemv_fp16ILj64EEvP6__halfS1_S1_jj
	.p2align	8
	.type	_Z9gemv_fp16ILj64EEvP6__halfS1_S1_jj,@function
_Z9gemv_fp16ILj64EEvP6__halfS1_S1_jj:   ; @_Z9gemv_fp16ILj64EEvP6__halfS1_S1_jj
; %bb.0:
	s_clause 0x1
	s_load_dword s0, s[4:5], 0x2c
	s_load_dwordx8 s[8:15], s[4:5], 0x0
	v_mov_b32_e32 v7, 0
	s_waitcnt lgkmcnt(0)
	s_lshr_b32 s1, s0, 16
	s_and_b32 s0, s0, 0xffff
	v_mad_u64_u32 v[2:3], null, s7, s1, v[1:2]
	s_cmp_lt_u32 s15, 8
	s_cbranch_scc1 .LBB7_13
; %bb.1:
	s_lshr_b32 s1, s14, 3
	s_lshr_b32 s2, s15, 3
	v_mul_lo_u32 v8, v2, s1
	s_cmp_eq_u32 s2, 1
	s_cbranch_scc1 .LBB7_8
; %bb.2:
	v_mov_b32_e32 v4, 0
	v_add_nc_u32_e32 v9, s0, v8
	v_mov_b32_e32 v3, v0
	s_and_b32 s2, s2, 0x1ffffffe
	s_lshl_b32 s3, s0, 1
	v_mov_b32_e32 v7, v4
	s_mov_b32 s4, 0
	s_branch .LBB7_4
.LBB7_3:                                ;   in Loop: Header=BB7_4 Depth=1
	s_or_b32 exec_lo, exec_lo, s5
	v_add_nc_u32_e32 v3, s3, v3
	s_add_i32 s4, s4, 2
	s_cmp_eq_u32 s2, s4
	s_cbranch_scc1 .LBB7_9
.LBB7_4:                                ; =>This Inner Loop Header: Depth=1
	s_mov_b32 s5, exec_lo
	v_cmpx_gt_u32_e64 s1, v3
	s_cbranch_execz .LBB7_6
; %bb.5:                                ;   in Loop: Header=BB7_4 Depth=1
	v_add_nc_u32_e32 v5, v8, v3
	v_mov_b32_e32 v6, v4
	v_lshlrev_b64 v[10:11], 4, v[3:4]
	v_lshlrev_b64 v[5:6], 4, v[5:6]
	v_add_co_u32 v10, vcc_lo, s10, v10
	v_add_co_ci_u32_e64 v11, null, s11, v11, vcc_lo
	v_add_co_u32 v5, vcc_lo, s8, v5
	v_add_co_ci_u32_e64 v6, null, s9, v6, vcc_lo
	global_load_dwordx4 v[10:13], v[10:11], off
	global_load_dwordx4 v[14:17], v[5:6], off
	s_waitcnt vmcnt(0)
	v_dot2c_f32_f16 v7, v10, v14
	v_dot2c_f32_f16 v7, v11, v15
	;; [unrolled: 1-line block ×4, first 2 shown]
.LBB7_6:                                ;   in Loop: Header=BB7_4 Depth=1
	s_or_b32 exec_lo, exec_lo, s5
	v_add_nc_u32_e32 v5, s0, v3
	s_mov_b32 s5, exec_lo
	v_cmpx_gt_u32_e64 s1, v5
	s_cbranch_execz .LBB7_3
; %bb.7:                                ;   in Loop: Header=BB7_4 Depth=1
	v_mov_b32_e32 v6, v4
	v_add_nc_u32_e32 v10, v9, v3
	v_mov_b32_e32 v11, v4
	v_lshlrev_b64 v[5:6], 4, v[5:6]
	v_lshlrev_b64 v[10:11], 4, v[10:11]
	v_add_co_u32 v5, vcc_lo, s10, v5
	v_add_co_ci_u32_e64 v6, null, s11, v6, vcc_lo
	v_add_co_u32 v14, vcc_lo, s8, v10
	v_add_co_ci_u32_e64 v15, null, s9, v11, vcc_lo
	global_load_dwordx4 v[10:13], v[5:6], off
	global_load_dwordx4 v[14:17], v[14:15], off
	s_waitcnt vmcnt(0)
	v_dot2c_f32_f16 v7, v10, v14
	v_dot2c_f32_f16 v7, v11, v15
	;; [unrolled: 1-line block ×4, first 2 shown]
	s_branch .LBB7_3
.LBB7_8:
	v_mov_b32_e32 v7, 0
	s_mov_b32 s2, 0
.LBB7_9:
	s_bitcmp0_b32 s15, 3
	s_cbranch_scc1 .LBB7_13
; %bb.10:
	v_mad_u64_u32 v[3:4], null, s2, s0, v[0:1]
	v_cmp_gt_u32_e32 vcc_lo, s1, v3
	s_and_saveexec_b32 s1, vcc_lo
	s_cbranch_execz .LBB7_12
; %bb.11:
	v_mov_b32_e32 v4, 0
	v_lshlrev_b64 v[5:6], 4, v[3:4]
	v_add_nc_u32_e32 v3, v3, v8
	v_lshlrev_b64 v[3:4], 4, v[3:4]
	v_add_co_u32 v5, vcc_lo, s10, v5
	v_add_co_ci_u32_e64 v6, null, s11, v6, vcc_lo
	v_add_co_u32 v8, vcc_lo, s8, v3
	v_add_co_ci_u32_e64 v9, null, s9, v4, vcc_lo
	global_load_dwordx4 v[3:6], v[5:6], off
	global_load_dwordx4 v[8:11], v[8:9], off
	s_waitcnt vmcnt(0)
	v_dot2c_f32_f16 v7, v3, v8
	v_dot2c_f32_f16 v7, v4, v9
	;; [unrolled: 1-line block ×4, first 2 shown]
.LBB7_12:
	s_or_b32 exec_lo, exec_lo, s1
.LBB7_13:
	s_cmp_lt_u32 s0, 64
	s_cbranch_scc0 .LBB7_34
; %bb.14:
	s_cmp_lt_u32 s0, 32
	s_cbranch_scc0 .LBB7_35
.LBB7_15:
	s_cmp_lt_u32 s0, 16
	s_cbranch_scc0 .LBB7_36
.LBB7_16:
	s_cmp_lt_u32 s0, 8
	s_cbranch_scc0 .LBB7_37
.LBB7_17:
	s_cmp_lt_u32 s0, 4
	s_cbranch_scc0 .LBB7_38
.LBB7_18:
	s_cmp_lt_u32 s0, 2
	s_cbranch_scc0 .LBB7_39
.LBB7_19:
	s_cmp_gt_u32 s0, 64
	s_cbranch_scc0 .LBB7_40
.LBB7_20:
	v_and_b32_e32 v4, 63, v0
	s_mov_b32 s1, exec_lo
	v_cmpx_eq_u32_e32 0, v4
; %bb.21:
	v_lshrrev_b32_e32 v3, 4, v0
	v_lshl_or_b32 v3, v1, 8, v3
	ds_write_b32 v3, v7
; %bb.22:
	s_or_b32 exec_lo, exec_lo, s1
	s_lshr_b32 s1, s0, 6
	v_mov_b32_e32 v3, 0
	v_cmp_gt_u32_e32 vcc_lo, s1, v0
	s_waitcnt lgkmcnt(0)
	s_barrier
	buffer_gl0_inv
	s_and_saveexec_b32 s1, vcc_lo
; %bb.23:
	v_lshlrev_b32_e32 v3, 2, v4
	v_lshl_or_b32 v1, v1, 8, v3
	ds_read_b32 v3, v1
; %bb.24:
	s_or_b32 exec_lo, exec_lo, s1
	s_mov_b32 s1, exec_lo
	v_cmpx_gt_u32_e32 64, v0
	s_cbranch_execz .LBB7_32
; %bb.25:
	v_mbcnt_lo_u32_b32 v1, -1, 0
	s_cmpk_lt_u32 s0, 0x1000
	s_cbranch_scc0 .LBB7_44
; %bb.26:
	s_cmpk_lt_u32 s0, 0x800
	s_cbranch_scc0 .LBB7_45
.LBB7_27:
	s_cmpk_lt_u32 s0, 0x400
	s_cbranch_scc0 .LBB7_46
.LBB7_28:
	s_cmpk_lt_u32 s0, 0x200
	s_cbranch_scc0 .LBB7_47
.LBB7_29:
	s_cmpk_lt_u32 s0, 0x100
	s_cbranch_scc0 .LBB7_48
.LBB7_30:
	s_cmpk_lt_u32 s0, 0x80
	s_cbranch_scc1 .LBB7_32
.LBB7_31:
	v_cmp_ne_u32_e32 vcc_lo, 31, v1
	v_add_co_ci_u32_e64 v1, null, 0, v1, vcc_lo
	v_lshlrev_b32_e32 v1, 2, v1
	s_waitcnt lgkmcnt(0)
	ds_bpermute_b32 v1, v1, v3
	s_waitcnt lgkmcnt(0)
	v_add_f32_e32 v3, v3, v1
.LBB7_32:
	s_or_b32 exec_lo, exec_lo, s1
	v_cmp_eq_u32_e64 s0, 0, v0
.LBB7_33:
	s_waitcnt lgkmcnt(0)
	v_mov_b32_e32 v7, v3
	s_and_saveexec_b32 s1, s0
	s_cbranch_execnz .LBB7_42
	s_branch .LBB7_43
.LBB7_34:
	v_mbcnt_lo_u32_b32 v3, -1, 0
	v_lshlrev_b32_e32 v3, 2, v3
	ds_bpermute_b32 v3, v3, v7
	s_waitcnt lgkmcnt(0)
	v_add_f32_e32 v7, v7, v3
	s_cmp_lt_u32 s0, 32
	s_cbranch_scc1 .LBB7_15
.LBB7_35:
	v_mbcnt_lo_u32_b32 v3, -1, 0
	v_lshl_or_b32 v3, v3, 2, 64
	ds_bpermute_b32 v3, v3, v7
	s_waitcnt lgkmcnt(0)
	v_add_f32_e32 v7, v7, v3
	s_cmp_lt_u32 s0, 16
	s_cbranch_scc1 .LBB7_16
.LBB7_36:
	v_mbcnt_lo_u32_b32 v3, -1, 0
	v_and_b32_e32 v4, 24, v3
	v_cmp_eq_u32_e32 vcc_lo, 24, v4
	v_cndmask_b32_e64 v4, 8, 0, vcc_lo
	v_add_lshl_u32 v3, v4, v3, 2
	ds_bpermute_b32 v3, v3, v7
	s_waitcnt lgkmcnt(0)
	v_add_f32_e32 v7, v7, v3
	s_cmp_lt_u32 s0, 8
	s_cbranch_scc1 .LBB7_17
.LBB7_37:
	v_mbcnt_lo_u32_b32 v3, -1, 0
	v_and_b32_e32 v4, 28, v3
	v_cmp_eq_u32_e32 vcc_lo, 28, v4
	v_cndmask_b32_e64 v4, 4, 0, vcc_lo
	v_add_lshl_u32 v3, v4, v3, 2
	ds_bpermute_b32 v3, v3, v7
	s_waitcnt lgkmcnt(0)
	v_add_f32_e32 v7, v7, v3
	s_cmp_lt_u32 s0, 4
	s_cbranch_scc1 .LBB7_18
.LBB7_38:
	v_mbcnt_lo_u32_b32 v3, -1, 0
	v_and_b32_e32 v4, 30, v3
	v_cmp_eq_u32_e32 vcc_lo, 30, v4
	v_cndmask_b32_e64 v4, 2, 0, vcc_lo
	v_add_lshl_u32 v3, v4, v3, 2
	ds_bpermute_b32 v3, v3, v7
	s_waitcnt lgkmcnt(0)
	v_add_f32_e32 v7, v7, v3
	s_cmp_lt_u32 s0, 2
	s_cbranch_scc1 .LBB7_19
.LBB7_39:
	v_mbcnt_lo_u32_b32 v3, -1, 0
	v_cmp_ne_u32_e32 vcc_lo, 31, v3
	v_add_co_ci_u32_e64 v3, null, 0, v3, vcc_lo
	v_lshlrev_b32_e32 v3, 2, v3
	ds_bpermute_b32 v3, v3, v7
	s_waitcnt lgkmcnt(0)
	v_add_f32_e32 v7, v7, v3
	s_cmp_gt_u32 s0, 64
	s_cbranch_scc1 .LBB7_20
.LBB7_40:
	s_mov_b32 s0, 0
                                        ; implicit-def: $vgpr3
	s_cbranch_execz .LBB7_33
; %bb.41:
	v_cmp_eq_u32_e32 vcc_lo, 0, v0
	s_andn2_b32 s0, s0, exec_lo
	s_and_b32 s1, vcc_lo, exec_lo
	s_or_b32 s0, s0, s1
	s_and_saveexec_b32 s1, s0
	s_cbranch_execz .LBB7_43
.LBB7_42:
	s_waitcnt lgkmcnt(0)
	v_mov_b32_e32 v3, 0
	v_lshlrev_b64 v[0:1], 1, v[2:3]
	v_cvt_f16_f32_e32 v2, v7
	v_add_co_u32 v0, vcc_lo, s12, v0
	v_add_co_ci_u32_e64 v1, null, s13, v1, vcc_lo
	global_store_short v[0:1], v2, off
.LBB7_43:
	s_endpgm
.LBB7_44:
	v_lshlrev_b32_e32 v4, 2, v1
	s_waitcnt lgkmcnt(0)
	ds_bpermute_b32 v4, v4, v3
	s_waitcnt lgkmcnt(0)
	v_add_f32_e32 v3, v3, v4
	s_cmpk_lt_u32 s0, 0x800
	s_cbranch_scc1 .LBB7_27
.LBB7_45:
	v_lshl_or_b32 v4, v1, 2, 64
	s_waitcnt lgkmcnt(0)
	ds_bpermute_b32 v4, v4, v3
	s_waitcnt lgkmcnt(0)
	v_add_f32_e32 v3, v3, v4
	s_cmpk_lt_u32 s0, 0x400
	s_cbranch_scc1 .LBB7_28
.LBB7_46:
	v_and_b32_e32 v4, 24, v1
	v_cmp_eq_u32_e32 vcc_lo, 24, v4
	v_cndmask_b32_e64 v4, 8, 0, vcc_lo
	v_add_lshl_u32 v4, v4, v1, 2
	s_waitcnt lgkmcnt(0)
	ds_bpermute_b32 v4, v4, v3
	s_waitcnt lgkmcnt(0)
	v_add_f32_e32 v3, v3, v4
	s_cmpk_lt_u32 s0, 0x200
	s_cbranch_scc1 .LBB7_29
.LBB7_47:
	v_and_b32_e32 v4, 28, v1
	v_cmp_eq_u32_e32 vcc_lo, 28, v4
	v_cndmask_b32_e64 v4, 4, 0, vcc_lo
	v_add_lshl_u32 v4, v4, v1, 2
	s_waitcnt lgkmcnt(0)
	ds_bpermute_b32 v4, v4, v3
	s_waitcnt lgkmcnt(0)
	v_add_f32_e32 v3, v3, v4
	s_cmpk_lt_u32 s0, 0x100
	s_cbranch_scc1 .LBB7_30
.LBB7_48:
	v_and_b32_e32 v4, 30, v1
	v_cmp_eq_u32_e32 vcc_lo, 30, v4
	v_cndmask_b32_e64 v4, 2, 0, vcc_lo
	v_add_lshl_u32 v4, v4, v1, 2
	s_waitcnt lgkmcnt(0)
	ds_bpermute_b32 v4, v4, v3
	s_waitcnt lgkmcnt(0)
	v_add_f32_e32 v3, v3, v4
	s_cmpk_lt_u32 s0, 0x80
	s_cbranch_scc0 .LBB7_31
	s_branch .LBB7_32
	.section	.rodata,"a",@progbits
	.p2align	6, 0x0
	.amdhsa_kernel _Z9gemv_fp16ILj64EEvP6__halfS1_S1_jj
		.amdhsa_group_segment_fixed_size 16384
		.amdhsa_private_segment_fixed_size 0
		.amdhsa_kernarg_size 288
		.amdhsa_user_sgpr_count 6
		.amdhsa_user_sgpr_private_segment_buffer 1
		.amdhsa_user_sgpr_dispatch_ptr 0
		.amdhsa_user_sgpr_queue_ptr 0
		.amdhsa_user_sgpr_kernarg_segment_ptr 1
		.amdhsa_user_sgpr_dispatch_id 0
		.amdhsa_user_sgpr_flat_scratch_init 0
		.amdhsa_user_sgpr_private_segment_size 0
		.amdhsa_wavefront_size32 1
		.amdhsa_uses_dynamic_stack 0
		.amdhsa_system_sgpr_private_segment_wavefront_offset 0
		.amdhsa_system_sgpr_workgroup_id_x 1
		.amdhsa_system_sgpr_workgroup_id_y 1
		.amdhsa_system_sgpr_workgroup_id_z 0
		.amdhsa_system_sgpr_workgroup_info 0
		.amdhsa_system_vgpr_workitem_id 1
		.amdhsa_next_free_vgpr 18
		.amdhsa_next_free_sgpr 16
		.amdhsa_reserve_vcc 1
		.amdhsa_reserve_flat_scratch 0
		.amdhsa_float_round_mode_32 0
		.amdhsa_float_round_mode_16_64 0
		.amdhsa_float_denorm_mode_32 3
		.amdhsa_float_denorm_mode_16_64 3
		.amdhsa_dx10_clamp 1
		.amdhsa_ieee_mode 1
		.amdhsa_fp16_overflow 0
		.amdhsa_workgroup_processor_mode 1
		.amdhsa_memory_ordered 1
		.amdhsa_forward_progress 1
		.amdhsa_shared_vgpr_count 0
		.amdhsa_exception_fp_ieee_invalid_op 0
		.amdhsa_exception_fp_denorm_src 0
		.amdhsa_exception_fp_ieee_div_zero 0
		.amdhsa_exception_fp_ieee_overflow 0
		.amdhsa_exception_fp_ieee_underflow 0
		.amdhsa_exception_fp_ieee_inexact 0
		.amdhsa_exception_int_div_zero 0
	.end_amdhsa_kernel
	.section	.text._Z9gemv_fp16ILj64EEvP6__halfS1_S1_jj,"axG",@progbits,_Z9gemv_fp16ILj64EEvP6__halfS1_S1_jj,comdat
.Lfunc_end7:
	.size	_Z9gemv_fp16ILj64EEvP6__halfS1_S1_jj, .Lfunc_end7-_Z9gemv_fp16ILj64EEvP6__halfS1_S1_jj
                                        ; -- End function
	.set _Z9gemv_fp16ILj64EEvP6__halfS1_S1_jj.num_vgpr, 18
	.set _Z9gemv_fp16ILj64EEvP6__halfS1_S1_jj.num_agpr, 0
	.set _Z9gemv_fp16ILj64EEvP6__halfS1_S1_jj.numbered_sgpr, 16
	.set _Z9gemv_fp16ILj64EEvP6__halfS1_S1_jj.num_named_barrier, 0
	.set _Z9gemv_fp16ILj64EEvP6__halfS1_S1_jj.private_seg_size, 0
	.set _Z9gemv_fp16ILj64EEvP6__halfS1_S1_jj.uses_vcc, 1
	.set _Z9gemv_fp16ILj64EEvP6__halfS1_S1_jj.uses_flat_scratch, 0
	.set _Z9gemv_fp16ILj64EEvP6__halfS1_S1_jj.has_dyn_sized_stack, 0
	.set _Z9gemv_fp16ILj64EEvP6__halfS1_S1_jj.has_recursion, 0
	.set _Z9gemv_fp16ILj64EEvP6__halfS1_S1_jj.has_indirect_call, 0
	.section	.AMDGPU.csdata,"",@progbits
; Kernel info:
; codeLenInByte = 1384
; TotalNumSgprs: 18
; NumVgprs: 18
; ScratchSize: 0
; MemoryBound: 0
; FloatMode: 240
; IeeeMode: 1
; LDSByteSize: 16384 bytes/workgroup (compile time only)
; SGPRBlocks: 0
; VGPRBlocks: 2
; NumSGPRsForWavesPerEU: 18
; NumVGPRsForWavesPerEU: 18
; Occupancy: 16
; WaveLimiterHint : 0
; COMPUTE_PGM_RSRC2:SCRATCH_EN: 0
; COMPUTE_PGM_RSRC2:USER_SGPR: 6
; COMPUTE_PGM_RSRC2:TRAP_HANDLER: 0
; COMPUTE_PGM_RSRC2:TGID_X_EN: 1
; COMPUTE_PGM_RSRC2:TGID_Y_EN: 1
; COMPUTE_PGM_RSRC2:TGID_Z_EN: 0
; COMPUTE_PGM_RSRC2:TIDIG_COMP_CNT: 1
	.section	.text._Z9gemv_fp16ILj32EEvP6__halfS1_S1_jj,"axG",@progbits,_Z9gemv_fp16ILj32EEvP6__halfS1_S1_jj,comdat
	.protected	_Z9gemv_fp16ILj32EEvP6__halfS1_S1_jj ; -- Begin function _Z9gemv_fp16ILj32EEvP6__halfS1_S1_jj
	.globl	_Z9gemv_fp16ILj32EEvP6__halfS1_S1_jj
	.p2align	8
	.type	_Z9gemv_fp16ILj32EEvP6__halfS1_S1_jj,@function
_Z9gemv_fp16ILj32EEvP6__halfS1_S1_jj:   ; @_Z9gemv_fp16ILj32EEvP6__halfS1_S1_jj
; %bb.0:
	s_clause 0x1
	s_load_dword s0, s[4:5], 0x2c
	s_load_dwordx8 s[8:15], s[4:5], 0x0
	v_mov_b32_e32 v7, 0
	s_waitcnt lgkmcnt(0)
	s_lshr_b32 s1, s0, 16
	s_and_b32 s0, s0, 0xffff
	v_mad_u64_u32 v[2:3], null, s7, s1, v[1:2]
	s_cmp_lt_u32 s15, 8
	s_cbranch_scc1 .LBB8_13
; %bb.1:
	s_lshr_b32 s1, s14, 3
	s_lshr_b32 s2, s15, 3
	v_mul_lo_u32 v8, v2, s1
	s_cmp_eq_u32 s2, 1
	s_cbranch_scc1 .LBB8_8
; %bb.2:
	v_mov_b32_e32 v4, 0
	v_add_nc_u32_e32 v9, s0, v8
	v_mov_b32_e32 v3, v0
	s_and_b32 s2, s2, 0x1ffffffe
	s_lshl_b32 s3, s0, 1
	v_mov_b32_e32 v7, v4
	s_mov_b32 s4, 0
	s_branch .LBB8_4
.LBB8_3:                                ;   in Loop: Header=BB8_4 Depth=1
	s_or_b32 exec_lo, exec_lo, s5
	v_add_nc_u32_e32 v3, s3, v3
	s_add_i32 s4, s4, 2
	s_cmp_eq_u32 s2, s4
	s_cbranch_scc1 .LBB8_9
.LBB8_4:                                ; =>This Inner Loop Header: Depth=1
	s_mov_b32 s5, exec_lo
	v_cmpx_gt_u32_e64 s1, v3
	s_cbranch_execz .LBB8_6
; %bb.5:                                ;   in Loop: Header=BB8_4 Depth=1
	v_add_nc_u32_e32 v5, v8, v3
	v_mov_b32_e32 v6, v4
	v_lshlrev_b64 v[10:11], 4, v[3:4]
	v_lshlrev_b64 v[5:6], 4, v[5:6]
	v_add_co_u32 v10, vcc_lo, s10, v10
	v_add_co_ci_u32_e64 v11, null, s11, v11, vcc_lo
	v_add_co_u32 v5, vcc_lo, s8, v5
	v_add_co_ci_u32_e64 v6, null, s9, v6, vcc_lo
	global_load_dwordx4 v[10:13], v[10:11], off
	global_load_dwordx4 v[14:17], v[5:6], off
	s_waitcnt vmcnt(0)
	v_dot2c_f32_f16 v7, v10, v14
	v_dot2c_f32_f16 v7, v11, v15
	;; [unrolled: 1-line block ×4, first 2 shown]
.LBB8_6:                                ;   in Loop: Header=BB8_4 Depth=1
	s_or_b32 exec_lo, exec_lo, s5
	v_add_nc_u32_e32 v5, s0, v3
	s_mov_b32 s5, exec_lo
	v_cmpx_gt_u32_e64 s1, v5
	s_cbranch_execz .LBB8_3
; %bb.7:                                ;   in Loop: Header=BB8_4 Depth=1
	v_mov_b32_e32 v6, v4
	v_add_nc_u32_e32 v10, v9, v3
	v_mov_b32_e32 v11, v4
	v_lshlrev_b64 v[5:6], 4, v[5:6]
	v_lshlrev_b64 v[10:11], 4, v[10:11]
	v_add_co_u32 v5, vcc_lo, s10, v5
	v_add_co_ci_u32_e64 v6, null, s11, v6, vcc_lo
	v_add_co_u32 v14, vcc_lo, s8, v10
	v_add_co_ci_u32_e64 v15, null, s9, v11, vcc_lo
	global_load_dwordx4 v[10:13], v[5:6], off
	global_load_dwordx4 v[14:17], v[14:15], off
	s_waitcnt vmcnt(0)
	v_dot2c_f32_f16 v7, v10, v14
	v_dot2c_f32_f16 v7, v11, v15
	v_dot2c_f32_f16 v7, v12, v16
	v_dot2c_f32_f16 v7, v13, v17
	s_branch .LBB8_3
.LBB8_8:
	v_mov_b32_e32 v7, 0
	s_mov_b32 s2, 0
.LBB8_9:
	s_bitcmp0_b32 s15, 3
	s_cbranch_scc1 .LBB8_13
; %bb.10:
	v_mad_u64_u32 v[3:4], null, s2, s0, v[0:1]
	v_cmp_gt_u32_e32 vcc_lo, s1, v3
	s_and_saveexec_b32 s1, vcc_lo
	s_cbranch_execz .LBB8_12
; %bb.11:
	v_mov_b32_e32 v4, 0
	v_lshlrev_b64 v[5:6], 4, v[3:4]
	v_add_nc_u32_e32 v3, v3, v8
	v_lshlrev_b64 v[3:4], 4, v[3:4]
	v_add_co_u32 v5, vcc_lo, s10, v5
	v_add_co_ci_u32_e64 v6, null, s11, v6, vcc_lo
	v_add_co_u32 v8, vcc_lo, s8, v3
	v_add_co_ci_u32_e64 v9, null, s9, v4, vcc_lo
	global_load_dwordx4 v[3:6], v[5:6], off
	global_load_dwordx4 v[8:11], v[8:9], off
	s_waitcnt vmcnt(0)
	v_dot2c_f32_f16 v7, v3, v8
	v_dot2c_f32_f16 v7, v4, v9
	v_dot2c_f32_f16 v7, v5, v10
	v_dot2c_f32_f16 v7, v6, v11
.LBB8_12:
	s_or_b32 exec_lo, exec_lo, s1
.LBB8_13:
	s_cmp_gt_u32 s0, 63
	s_cselect_b32 s1, -1, 0
	s_cmp_lt_u32 s0, 64
	s_cbranch_scc0 .LBB8_34
; %bb.14:
	s_cmp_lt_u32 s0, 32
	s_cbranch_scc0 .LBB8_35
.LBB8_15:
	s_cmp_lt_u32 s0, 16
	s_cbranch_scc0 .LBB8_36
.LBB8_16:
	s_cmp_lt_u32 s0, 8
	s_cbranch_scc0 .LBB8_37
.LBB8_17:
	s_cmp_lt_u32 s0, 4
	s_cbranch_scc0 .LBB8_38
.LBB8_18:
	s_cmp_lt_u32 s0, 2
	s_cbranch_scc0 .LBB8_39
.LBB8_19:
	s_cmp_gt_u32 s0, 32
	s_cbranch_scc0 .LBB8_40
.LBB8_20:
	v_and_b32_e32 v4, 31, v0
	s_mov_b32 s2, exec_lo
	v_cmpx_eq_u32_e32 0, v4
; %bb.21:
	v_lshrrev_b32_e32 v3, 3, v0
	v_lshl_or_b32 v3, v1, 7, v3
	ds_write_b32 v3, v7
; %bb.22:
	s_or_b32 exec_lo, exec_lo, s2
	s_lshr_b32 s2, s0, 5
	v_mov_b32_e32 v3, 0
	v_cmp_gt_u32_e32 vcc_lo, s2, v0
	s_waitcnt lgkmcnt(0)
	s_barrier
	buffer_gl0_inv
	s_and_saveexec_b32 s2, vcc_lo
; %bb.23:
	v_lshlrev_b32_e32 v3, 2, v4
	v_lshl_or_b32 v1, v1, 7, v3
	ds_read_b32 v3, v1
; %bb.24:
	s_or_b32 exec_lo, exec_lo, s2
	s_mov_b32 s2, exec_lo
	v_cmpx_gt_u32_e32 32, v0
	s_cbranch_execz .LBB8_32
; %bb.25:
	v_mbcnt_lo_u32_b32 v1, -1, 0
	s_cmpk_lt_u32 s0, 0x800
	s_cbranch_scc0 .LBB8_44
; %bb.26:
	s_cmpk_lt_u32 s0, 0x400
	s_cbranch_scc0 .LBB8_45
.LBB8_27:
	s_cmpk_lt_u32 s0, 0x200
	s_cbranch_scc0 .LBB8_46
.LBB8_28:
	s_cmpk_lt_u32 s0, 0x100
	s_cbranch_scc0 .LBB8_47
.LBB8_29:
	s_cmpk_lt_u32 s0, 0x80
	s_cbranch_scc0 .LBB8_48
.LBB8_30:
	s_andn2_b32 vcc_lo, exec_lo, s1
	s_cbranch_vccnz .LBB8_32
.LBB8_31:
	v_cmp_ne_u32_e32 vcc_lo, 31, v1
	v_add_co_ci_u32_e64 v1, null, 0, v1, vcc_lo
	v_lshlrev_b32_e32 v1, 2, v1
	s_waitcnt lgkmcnt(0)
	ds_bpermute_b32 v1, v1, v3
	s_waitcnt lgkmcnt(0)
	v_add_f32_e32 v3, v3, v1
.LBB8_32:
	s_or_b32 exec_lo, exec_lo, s2
	v_cmp_eq_u32_e64 s0, 0, v0
.LBB8_33:
	s_waitcnt lgkmcnt(0)
	v_mov_b32_e32 v7, v3
	s_and_saveexec_b32 s1, s0
	s_cbranch_execnz .LBB8_42
	s_branch .LBB8_43
.LBB8_34:
	v_mbcnt_lo_u32_b32 v3, -1, 0
	v_lshlrev_b32_e32 v3, 2, v3
	ds_bpermute_b32 v3, v3, v7
	s_waitcnt lgkmcnt(0)
	v_add_f32_e32 v7, v7, v3
	s_cmp_lt_u32 s0, 32
	s_cbranch_scc1 .LBB8_15
.LBB8_35:
	v_mbcnt_lo_u32_b32 v3, -1, 0
	v_lshl_or_b32 v3, v3, 2, 64
	ds_bpermute_b32 v3, v3, v7
	s_waitcnt lgkmcnt(0)
	v_add_f32_e32 v7, v7, v3
	s_cmp_lt_u32 s0, 16
	s_cbranch_scc1 .LBB8_16
.LBB8_36:
	v_mbcnt_lo_u32_b32 v3, -1, 0
	v_and_b32_e32 v4, 24, v3
	v_cmp_eq_u32_e32 vcc_lo, 24, v4
	v_cndmask_b32_e64 v4, 8, 0, vcc_lo
	v_add_lshl_u32 v3, v4, v3, 2
	ds_bpermute_b32 v3, v3, v7
	s_waitcnt lgkmcnt(0)
	v_add_f32_e32 v7, v7, v3
	s_cmp_lt_u32 s0, 8
	s_cbranch_scc1 .LBB8_17
.LBB8_37:
	v_mbcnt_lo_u32_b32 v3, -1, 0
	v_and_b32_e32 v4, 28, v3
	v_cmp_eq_u32_e32 vcc_lo, 28, v4
	v_cndmask_b32_e64 v4, 4, 0, vcc_lo
	v_add_lshl_u32 v3, v4, v3, 2
	ds_bpermute_b32 v3, v3, v7
	s_waitcnt lgkmcnt(0)
	v_add_f32_e32 v7, v7, v3
	s_cmp_lt_u32 s0, 4
	s_cbranch_scc1 .LBB8_18
.LBB8_38:
	v_mbcnt_lo_u32_b32 v3, -1, 0
	v_and_b32_e32 v4, 30, v3
	v_cmp_eq_u32_e32 vcc_lo, 30, v4
	v_cndmask_b32_e64 v4, 2, 0, vcc_lo
	v_add_lshl_u32 v3, v4, v3, 2
	ds_bpermute_b32 v3, v3, v7
	s_waitcnt lgkmcnt(0)
	v_add_f32_e32 v7, v7, v3
	s_cmp_lt_u32 s0, 2
	s_cbranch_scc1 .LBB8_19
.LBB8_39:
	v_mbcnt_lo_u32_b32 v3, -1, 0
	v_cmp_ne_u32_e32 vcc_lo, 31, v3
	v_add_co_ci_u32_e64 v3, null, 0, v3, vcc_lo
	v_lshlrev_b32_e32 v3, 2, v3
	ds_bpermute_b32 v3, v3, v7
	s_waitcnt lgkmcnt(0)
	v_add_f32_e32 v7, v7, v3
	s_cmp_gt_u32 s0, 32
	s_cbranch_scc1 .LBB8_20
.LBB8_40:
	s_mov_b32 s0, 0
                                        ; implicit-def: $vgpr3
	s_cbranch_execz .LBB8_33
; %bb.41:
	v_cmp_eq_u32_e32 vcc_lo, 0, v0
	s_andn2_b32 s0, s0, exec_lo
	s_and_b32 s1, vcc_lo, exec_lo
	s_or_b32 s0, s0, s1
	s_and_saveexec_b32 s1, s0
	s_cbranch_execz .LBB8_43
.LBB8_42:
	s_waitcnt lgkmcnt(0)
	v_mov_b32_e32 v3, 0
	v_lshlrev_b64 v[0:1], 1, v[2:3]
	v_cvt_f16_f32_e32 v2, v7
	v_add_co_u32 v0, vcc_lo, s12, v0
	v_add_co_ci_u32_e64 v1, null, s13, v1, vcc_lo
	global_store_short v[0:1], v2, off
.LBB8_43:
	s_endpgm
.LBB8_44:
	v_lshlrev_b32_e32 v4, 2, v1
	s_waitcnt lgkmcnt(0)
	ds_bpermute_b32 v4, v4, v3
	s_waitcnt lgkmcnt(0)
	v_add_f32_e32 v3, v3, v4
	s_cmpk_lt_u32 s0, 0x400
	s_cbranch_scc1 .LBB8_27
.LBB8_45:
	v_lshl_or_b32 v4, v1, 2, 64
	s_waitcnt lgkmcnt(0)
	ds_bpermute_b32 v4, v4, v3
	s_waitcnt lgkmcnt(0)
	v_add_f32_e32 v3, v3, v4
	s_cmpk_lt_u32 s0, 0x200
	s_cbranch_scc1 .LBB8_28
.LBB8_46:
	v_and_b32_e32 v4, 24, v1
	v_cmp_eq_u32_e32 vcc_lo, 24, v4
	v_cndmask_b32_e64 v4, 8, 0, vcc_lo
	v_add_lshl_u32 v4, v4, v1, 2
	s_waitcnt lgkmcnt(0)
	ds_bpermute_b32 v4, v4, v3
	s_waitcnt lgkmcnt(0)
	v_add_f32_e32 v3, v3, v4
	s_cmpk_lt_u32 s0, 0x100
	s_cbranch_scc1 .LBB8_29
.LBB8_47:
	v_and_b32_e32 v4, 28, v1
	v_cmp_eq_u32_e32 vcc_lo, 28, v4
	v_cndmask_b32_e64 v4, 4, 0, vcc_lo
	v_add_lshl_u32 v4, v4, v1, 2
	s_waitcnt lgkmcnt(0)
	ds_bpermute_b32 v4, v4, v3
	s_waitcnt lgkmcnt(0)
	v_add_f32_e32 v3, v3, v4
	s_cmpk_lt_u32 s0, 0x80
	s_cbranch_scc1 .LBB8_30
.LBB8_48:
	v_and_b32_e32 v4, 30, v1
	v_cmp_eq_u32_e32 vcc_lo, 30, v4
	v_cndmask_b32_e64 v4, 2, 0, vcc_lo
	v_add_lshl_u32 v4, v4, v1, 2
	s_waitcnt lgkmcnt(0)
	ds_bpermute_b32 v4, v4, v3
	s_waitcnt lgkmcnt(0)
	v_add_f32_e32 v3, v3, v4
	s_andn2_b32 vcc_lo, exec_lo, s1
	s_cbranch_vccz .LBB8_31
	s_branch .LBB8_32
	.section	.rodata,"a",@progbits
	.p2align	6, 0x0
	.amdhsa_kernel _Z9gemv_fp16ILj32EEvP6__halfS1_S1_jj
		.amdhsa_group_segment_fixed_size 8192
		.amdhsa_private_segment_fixed_size 0
		.amdhsa_kernarg_size 288
		.amdhsa_user_sgpr_count 6
		.amdhsa_user_sgpr_private_segment_buffer 1
		.amdhsa_user_sgpr_dispatch_ptr 0
		.amdhsa_user_sgpr_queue_ptr 0
		.amdhsa_user_sgpr_kernarg_segment_ptr 1
		.amdhsa_user_sgpr_dispatch_id 0
		.amdhsa_user_sgpr_flat_scratch_init 0
		.amdhsa_user_sgpr_private_segment_size 0
		.amdhsa_wavefront_size32 1
		.amdhsa_uses_dynamic_stack 0
		.amdhsa_system_sgpr_private_segment_wavefront_offset 0
		.amdhsa_system_sgpr_workgroup_id_x 1
		.amdhsa_system_sgpr_workgroup_id_y 1
		.amdhsa_system_sgpr_workgroup_id_z 0
		.amdhsa_system_sgpr_workgroup_info 0
		.amdhsa_system_vgpr_workitem_id 1
		.amdhsa_next_free_vgpr 18
		.amdhsa_next_free_sgpr 16
		.amdhsa_reserve_vcc 1
		.amdhsa_reserve_flat_scratch 0
		.amdhsa_float_round_mode_32 0
		.amdhsa_float_round_mode_16_64 0
		.amdhsa_float_denorm_mode_32 3
		.amdhsa_float_denorm_mode_16_64 3
		.amdhsa_dx10_clamp 1
		.amdhsa_ieee_mode 1
		.amdhsa_fp16_overflow 0
		.amdhsa_workgroup_processor_mode 1
		.amdhsa_memory_ordered 1
		.amdhsa_forward_progress 1
		.amdhsa_shared_vgpr_count 0
		.amdhsa_exception_fp_ieee_invalid_op 0
		.amdhsa_exception_fp_denorm_src 0
		.amdhsa_exception_fp_ieee_div_zero 0
		.amdhsa_exception_fp_ieee_overflow 0
		.amdhsa_exception_fp_ieee_underflow 0
		.amdhsa_exception_fp_ieee_inexact 0
		.amdhsa_exception_int_div_zero 0
	.end_amdhsa_kernel
	.section	.text._Z9gemv_fp16ILj32EEvP6__halfS1_S1_jj,"axG",@progbits,_Z9gemv_fp16ILj32EEvP6__halfS1_S1_jj,comdat
.Lfunc_end8:
	.size	_Z9gemv_fp16ILj32EEvP6__halfS1_S1_jj, .Lfunc_end8-_Z9gemv_fp16ILj32EEvP6__halfS1_S1_jj
                                        ; -- End function
	.set _Z9gemv_fp16ILj32EEvP6__halfS1_S1_jj.num_vgpr, 18
	.set _Z9gemv_fp16ILj32EEvP6__halfS1_S1_jj.num_agpr, 0
	.set _Z9gemv_fp16ILj32EEvP6__halfS1_S1_jj.numbered_sgpr, 16
	.set _Z9gemv_fp16ILj32EEvP6__halfS1_S1_jj.num_named_barrier, 0
	.set _Z9gemv_fp16ILj32EEvP6__halfS1_S1_jj.private_seg_size, 0
	.set _Z9gemv_fp16ILj32EEvP6__halfS1_S1_jj.uses_vcc, 1
	.set _Z9gemv_fp16ILj32EEvP6__halfS1_S1_jj.uses_flat_scratch, 0
	.set _Z9gemv_fp16ILj32EEvP6__halfS1_S1_jj.has_dyn_sized_stack, 0
	.set _Z9gemv_fp16ILj32EEvP6__halfS1_S1_jj.has_recursion, 0
	.set _Z9gemv_fp16ILj32EEvP6__halfS1_S1_jj.has_indirect_call, 0
	.section	.AMDGPU.csdata,"",@progbits
; Kernel info:
; codeLenInByte = 1392
; TotalNumSgprs: 18
; NumVgprs: 18
; ScratchSize: 0
; MemoryBound: 0
; FloatMode: 240
; IeeeMode: 1
; LDSByteSize: 8192 bytes/workgroup (compile time only)
; SGPRBlocks: 0
; VGPRBlocks: 2
; NumSGPRsForWavesPerEU: 18
; NumVGPRsForWavesPerEU: 18
; Occupancy: 16
; WaveLimiterHint : 0
; COMPUTE_PGM_RSRC2:SCRATCH_EN: 0
; COMPUTE_PGM_RSRC2:USER_SGPR: 6
; COMPUTE_PGM_RSRC2:TRAP_HANDLER: 0
; COMPUTE_PGM_RSRC2:TGID_X_EN: 1
; COMPUTE_PGM_RSRC2:TGID_Y_EN: 1
; COMPUTE_PGM_RSRC2:TGID_Z_EN: 0
; COMPUTE_PGM_RSRC2:TIDIG_COMP_CNT: 1
	.text
	.p2alignl 6, 3214868480
	.fill 48, 4, 3214868480
	.section	.AMDGPU.gpr_maximums,"",@progbits
	.set amdgpu.max_num_vgpr, 0
	.set amdgpu.max_num_agpr, 0
	.set amdgpu.max_num_sgpr, 0
	.text
	.type	.str,@object                    ; @.str
	.section	.rodata.str1.1,"aMS",@progbits,1
.str:
	.asciz	"!!![idx=%d] %f != %f, diff=%f\n"
	.size	.str, 31

	.type	__hip_cuid_e8c3f6a5ff36fc26,@object ; @__hip_cuid_e8c3f6a5ff36fc26
	.section	.bss,"aw",@nobits
	.globl	__hip_cuid_e8c3f6a5ff36fc26
__hip_cuid_e8c3f6a5ff36fc26:
	.byte	0                               ; 0x0
	.size	__hip_cuid_e8c3f6a5ff36fc26, 1

	.ident	"AMD clang version 22.0.0git (https://github.com/RadeonOpenCompute/llvm-project roc-7.2.4 26084 f58b06dce1f9c15707c5f808fd002e18c2accf7e)"
	.section	".note.GNU-stack","",@progbits
	.addrsig
	.addrsig_sym __hip_cuid_e8c3f6a5ff36fc26
	.amdgpu_metadata
---
amdhsa.kernels:
  - .args:
      - .address_space:  global
        .offset:         0
        .size:           8
        .value_kind:     global_buffer
      - .address_space:  global
        .offset:         8
        .size:           8
        .value_kind:     global_buffer
      - .address_space:  global
        .offset:         16
        .size:           8
        .value_kind:     global_buffer
      - .offset:         24
        .size:           4
        .value_kind:     by_value
      - .offset:         32
        .size:           4
        .value_kind:     hidden_block_count_x
      - .offset:         36
        .size:           4
        .value_kind:     hidden_block_count_y
      - .offset:         40
        .size:           4
        .value_kind:     hidden_block_count_z
      - .offset:         44
        .size:           2
        .value_kind:     hidden_group_size_x
      - .offset:         46
        .size:           2
        .value_kind:     hidden_group_size_y
      - .offset:         48
        .size:           2
        .value_kind:     hidden_group_size_z
      - .offset:         50
        .size:           2
        .value_kind:     hidden_remainder_x
      - .offset:         52
        .size:           2
        .value_kind:     hidden_remainder_y
      - .offset:         54
        .size:           2
        .value_kind:     hidden_remainder_z
      - .offset:         72
        .size:           8
        .value_kind:     hidden_global_offset_x
      - .offset:         80
        .size:           8
        .value_kind:     hidden_global_offset_y
      - .offset:         88
        .size:           8
        .value_kind:     hidden_global_offset_z
      - .offset:         96
        .size:           2
        .value_kind:     hidden_grid_dims
      - .offset:         112
        .size:           8
        .value_kind:     hidden_hostcall_buffer
    .group_segment_fixed_size: 0
    .kernarg_segment_align: 8
    .kernarg_segment_size: 288
    .language:       OpenCL C
    .language_version:
      - 2
      - 0
    .max_flat_workgroup_size: 1024
    .name:           _Z17check_correctnessP6__halfS0_S0_i
    .private_segment_fixed_size: 0
    .sgpr_count:     20
    .sgpr_spill_count: 0
    .symbol:         _Z17check_correctnessP6__halfS0_S0_i.kd
    .uniform_work_group_size: 1
    .uses_dynamic_stack: false
    .vgpr_count:     37
    .vgpr_spill_count: 0
    .wavefront_size: 32
    .workgroup_processor_mode: 1
  - .args:
      - .address_space:  global
        .offset:         0
        .size:           8
        .value_kind:     global_buffer
      - .address_space:  global
        .offset:         8
        .size:           8
        .value_kind:     global_buffer
      - .address_space:  global
        .offset:         16
        .size:           8
        .value_kind:     global_buffer
      - .offset:         24
        .size:           2
        .value_kind:     by_value
      - .offset:         26
        .size:           2
        .value_kind:     by_value
      - .offset:         28
        .size:           4
        .value_kind:     by_value
      - .offset:         32
        .size:           4
        .value_kind:     hidden_block_count_x
      - .offset:         36
        .size:           4
        .value_kind:     hidden_block_count_y
      - .offset:         40
        .size:           4
        .value_kind:     hidden_block_count_z
      - .offset:         44
        .size:           2
        .value_kind:     hidden_group_size_x
      - .offset:         46
        .size:           2
        .value_kind:     hidden_group_size_y
      - .offset:         48
        .size:           2
        .value_kind:     hidden_group_size_z
      - .offset:         50
        .size:           2
        .value_kind:     hidden_remainder_x
      - .offset:         52
        .size:           2
        .value_kind:     hidden_remainder_y
      - .offset:         54
        .size:           2
        .value_kind:     hidden_remainder_z
      - .offset:         72
        .size:           8
        .value_kind:     hidden_global_offset_x
      - .offset:         80
        .size:           8
        .value_kind:     hidden_global_offset_y
      - .offset:         88
        .size:           8
        .value_kind:     hidden_global_offset_z
      - .offset:         96
        .size:           2
        .value_kind:     hidden_grid_dims
      - .offset:         112
        .size:           8
        .value_kind:     hidden_hostcall_buffer
    .group_segment_fixed_size: 0
    .kernarg_segment_align: 8
    .kernarg_segment_size: 288
    .language:       OpenCL C
    .language_version:
      - 2
      - 0
    .max_flat_workgroup_size: 1024
    .name:           _Z32check_int8_quantized_correctnessPaP6__halfS1_S0_S0_i
    .private_segment_fixed_size: 0
    .sgpr_count:     20
    .sgpr_spill_count: 0
    .symbol:         _Z32check_int8_quantized_correctnessPaP6__halfS1_S0_S0_i.kd
    .uniform_work_group_size: 1
    .uses_dynamic_stack: false
    .vgpr_count:     37
    .vgpr_spill_count: 0
    .wavefront_size: 32
    .workgroup_processor_mode: 1
  - .args:
      - .address_space:  global
        .offset:         0
        .size:           8
        .value_kind:     global_buffer
      - .address_space:  global
        .offset:         8
        .size:           8
        .value_kind:     global_buffer
      - .address_space:  global
        .offset:         16
        .size:           8
        .value_kind:     global_buffer
      - .offset:         24
        .size:           2
        .value_kind:     by_value
      - .offset:         26
        .size:           2
        .value_kind:     by_value
      - .offset:         28
        .size:           4
        .value_kind:     by_value
      - .offset:         32
        .size:           4
        .value_kind:     hidden_block_count_x
      - .offset:         36
        .size:           4
        .value_kind:     hidden_block_count_y
      - .offset:         40
        .size:           4
        .value_kind:     hidden_block_count_z
      - .offset:         44
        .size:           2
        .value_kind:     hidden_group_size_x
      - .offset:         46
        .size:           2
        .value_kind:     hidden_group_size_y
      - .offset:         48
        .size:           2
        .value_kind:     hidden_group_size_z
      - .offset:         50
        .size:           2
        .value_kind:     hidden_remainder_x
      - .offset:         52
        .size:           2
        .value_kind:     hidden_remainder_y
      - .offset:         54
        .size:           2
        .value_kind:     hidden_remainder_z
      - .offset:         72
        .size:           8
        .value_kind:     hidden_global_offset_x
      - .offset:         80
        .size:           8
        .value_kind:     hidden_global_offset_y
      - .offset:         88
        .size:           8
        .value_kind:     hidden_global_offset_z
      - .offset:         96
        .size:           2
        .value_kind:     hidden_grid_dims
      - .offset:         112
        .size:           8
        .value_kind:     hidden_hostcall_buffer
    .group_segment_fixed_size: 0
    .kernarg_segment_align: 8
    .kernarg_segment_size: 288
    .language:       OpenCL C
    .language_version:
      - 2
      - 0
    .max_flat_workgroup_size: 1024
    .name:           _Z32check_int4_quantized_correctnessP7uint4_2P6__halfS2_S1_S1_i
    .private_segment_fixed_size: 0
    .sgpr_count:     20
    .sgpr_spill_count: 0
    .symbol:         _Z32check_int4_quantized_correctnessP7uint4_2P6__halfS2_S1_S1_i.kd
    .uniform_work_group_size: 1
    .uses_dynamic_stack: false
    .vgpr_count:     37
    .vgpr_spill_count: 0
    .wavefront_size: 32
    .workgroup_processor_mode: 1
  - .args:
      - .address_space:  global
        .offset:         0
        .size:           8
        .value_kind:     global_buffer
      - .address_space:  global
        .offset:         8
        .size:           8
        .value_kind:     global_buffer
      - .address_space:  global
        .offset:         16
        .size:           8
        .value_kind:     global_buffer
      - .offset:         24
        .size:           4
        .value_kind:     by_value
      - .offset:         28
        .size:           2
        .value_kind:     by_value
      - .offset:         30
        .size:           2
        .value_kind:     by_value
      - .offset:         32
        .size:           4
        .value_kind:     by_value
      - .offset:         40
        .size:           4
        .value_kind:     hidden_block_count_x
      - .offset:         44
        .size:           4
        .value_kind:     hidden_block_count_y
      - .offset:         48
        .size:           4
        .value_kind:     hidden_block_count_z
      - .offset:         52
        .size:           2
        .value_kind:     hidden_group_size_x
      - .offset:         54
        .size:           2
        .value_kind:     hidden_group_size_y
      - .offset:         56
        .size:           2
        .value_kind:     hidden_group_size_z
      - .offset:         58
        .size:           2
        .value_kind:     hidden_remainder_x
      - .offset:         60
        .size:           2
        .value_kind:     hidden_remainder_y
      - .offset:         62
        .size:           2
        .value_kind:     hidden_remainder_z
      - .offset:         80
        .size:           8
        .value_kind:     hidden_global_offset_x
      - .offset:         88
        .size:           8
        .value_kind:     hidden_global_offset_y
      - .offset:         96
        .size:           8
        .value_kind:     hidden_global_offset_z
      - .offset:         104
        .size:           2
        .value_kind:     hidden_grid_dims
    .group_segment_fixed_size: 16384
    .kernarg_segment_align: 8
    .kernarg_segment_size: 296
    .language:       OpenCL C
    .language_version:
      - 2
      - 0
    .max_flat_workgroup_size: 1024
    .name:           _Z19gemv_quantized_int4ILj64EEvP7uint4_2P6__halfS3_jS2_S2_j
    .private_segment_fixed_size: 0
    .sgpr_count:     15
    .sgpr_spill_count: 0
    .symbol:         _Z19gemv_quantized_int4ILj64EEvP7uint4_2P6__halfS3_jS2_S2_j.kd
    .uniform_work_group_size: 1
    .uses_dynamic_stack: false
    .vgpr_count:     23
    .vgpr_spill_count: 0
    .wavefront_size: 32
    .workgroup_processor_mode: 1
  - .args:
      - .address_space:  global
        .offset:         0
        .size:           8
        .value_kind:     global_buffer
      - .address_space:  global
        .offset:         8
        .size:           8
        .value_kind:     global_buffer
      - .address_space:  global
        .offset:         16
        .size:           8
        .value_kind:     global_buffer
      - .offset:         24
        .size:           4
        .value_kind:     by_value
      - .offset:         28
        .size:           2
        .value_kind:     by_value
      - .offset:         30
        .size:           2
        .value_kind:     by_value
      - .offset:         32
        .size:           4
        .value_kind:     by_value
      - .offset:         40
        .size:           4
        .value_kind:     hidden_block_count_x
      - .offset:         44
        .size:           4
        .value_kind:     hidden_block_count_y
      - .offset:         48
        .size:           4
        .value_kind:     hidden_block_count_z
      - .offset:         52
        .size:           2
        .value_kind:     hidden_group_size_x
      - .offset:         54
        .size:           2
        .value_kind:     hidden_group_size_y
      - .offset:         56
        .size:           2
        .value_kind:     hidden_group_size_z
      - .offset:         58
        .size:           2
        .value_kind:     hidden_remainder_x
      - .offset:         60
        .size:           2
        .value_kind:     hidden_remainder_y
      - .offset:         62
        .size:           2
        .value_kind:     hidden_remainder_z
      - .offset:         80
        .size:           8
        .value_kind:     hidden_global_offset_x
      - .offset:         88
        .size:           8
        .value_kind:     hidden_global_offset_y
      - .offset:         96
        .size:           8
        .value_kind:     hidden_global_offset_z
      - .offset:         104
        .size:           2
        .value_kind:     hidden_grid_dims
    .group_segment_fixed_size: 8192
    .kernarg_segment_align: 8
    .kernarg_segment_size: 296
    .language:       OpenCL C
    .language_version:
      - 2
      - 0
    .max_flat_workgroup_size: 1024
    .name:           _Z19gemv_quantized_int4ILj32EEvP7uint4_2P6__halfS3_jS2_S2_j
    .private_segment_fixed_size: 0
    .sgpr_count:     15
    .sgpr_spill_count: 0
    .symbol:         _Z19gemv_quantized_int4ILj32EEvP7uint4_2P6__halfS3_jS2_S2_j.kd
    .uniform_work_group_size: 1
    .uses_dynamic_stack: false
    .vgpr_count:     23
    .vgpr_spill_count: 0
    .wavefront_size: 32
    .workgroup_processor_mode: 1
  - .args:
      - .address_space:  global
        .offset:         0
        .size:           8
        .value_kind:     global_buffer
      - .address_space:  global
        .offset:         8
        .size:           8
        .value_kind:     global_buffer
      - .address_space:  global
        .offset:         16
        .size:           8
        .value_kind:     global_buffer
      - .offset:         24
        .size:           4
        .value_kind:     by_value
      - .offset:         28
        .size:           2
        .value_kind:     by_value
      - .offset:         30
        .size:           2
        .value_kind:     by_value
      - .offset:         32
        .size:           4
        .value_kind:     by_value
      - .offset:         40
        .size:           4
        .value_kind:     hidden_block_count_x
      - .offset:         44
        .size:           4
        .value_kind:     hidden_block_count_y
      - .offset:         48
        .size:           4
        .value_kind:     hidden_block_count_z
      - .offset:         52
        .size:           2
        .value_kind:     hidden_group_size_x
      - .offset:         54
        .size:           2
        .value_kind:     hidden_group_size_y
      - .offset:         56
        .size:           2
        .value_kind:     hidden_group_size_z
      - .offset:         58
        .size:           2
        .value_kind:     hidden_remainder_x
      - .offset:         60
        .size:           2
        .value_kind:     hidden_remainder_y
      - .offset:         62
        .size:           2
        .value_kind:     hidden_remainder_z
      - .offset:         80
        .size:           8
        .value_kind:     hidden_global_offset_x
      - .offset:         88
        .size:           8
        .value_kind:     hidden_global_offset_y
      - .offset:         96
        .size:           8
        .value_kind:     hidden_global_offset_z
      - .offset:         104
        .size:           2
        .value_kind:     hidden_grid_dims
    .group_segment_fixed_size: 16384
    .kernarg_segment_align: 8
    .kernarg_segment_size: 296
    .language:       OpenCL C
    .language_version:
      - 2
      - 0
    .max_flat_workgroup_size: 1024
    .name:           _Z19gemv_quantized_int8ILj64EEvPaP6__halfS2_jS1_S1_j
    .private_segment_fixed_size: 0
    .sgpr_count:     16
    .sgpr_spill_count: 0
    .symbol:         _Z19gemv_quantized_int8ILj64EEvPaP6__halfS2_jS1_S1_j.kd
    .uniform_work_group_size: 1
    .uses_dynamic_stack: false
    .vgpr_count:     18
    .vgpr_spill_count: 0
    .wavefront_size: 32
    .workgroup_processor_mode: 1
  - .args:
      - .address_space:  global
        .offset:         0
        .size:           8
        .value_kind:     global_buffer
      - .address_space:  global
        .offset:         8
        .size:           8
        .value_kind:     global_buffer
      - .address_space:  global
        .offset:         16
        .size:           8
        .value_kind:     global_buffer
      - .offset:         24
        .size:           4
        .value_kind:     by_value
      - .offset:         28
        .size:           2
        .value_kind:     by_value
      - .offset:         30
        .size:           2
        .value_kind:     by_value
      - .offset:         32
        .size:           4
        .value_kind:     by_value
      - .offset:         40
        .size:           4
        .value_kind:     hidden_block_count_x
      - .offset:         44
        .size:           4
        .value_kind:     hidden_block_count_y
      - .offset:         48
        .size:           4
        .value_kind:     hidden_block_count_z
      - .offset:         52
        .size:           2
        .value_kind:     hidden_group_size_x
      - .offset:         54
        .size:           2
        .value_kind:     hidden_group_size_y
      - .offset:         56
        .size:           2
        .value_kind:     hidden_group_size_z
      - .offset:         58
        .size:           2
        .value_kind:     hidden_remainder_x
      - .offset:         60
        .size:           2
        .value_kind:     hidden_remainder_y
      - .offset:         62
        .size:           2
        .value_kind:     hidden_remainder_z
      - .offset:         80
        .size:           8
        .value_kind:     hidden_global_offset_x
      - .offset:         88
        .size:           8
        .value_kind:     hidden_global_offset_y
      - .offset:         96
        .size:           8
        .value_kind:     hidden_global_offset_z
      - .offset:         104
        .size:           2
        .value_kind:     hidden_grid_dims
    .group_segment_fixed_size: 8192
    .kernarg_segment_align: 8
    .kernarg_segment_size: 296
    .language:       OpenCL C
    .language_version:
      - 2
      - 0
    .max_flat_workgroup_size: 1024
    .name:           _Z19gemv_quantized_int8ILj32EEvPaP6__halfS2_jS1_S1_j
    .private_segment_fixed_size: 0
    .sgpr_count:     16
    .sgpr_spill_count: 0
    .symbol:         _Z19gemv_quantized_int8ILj32EEvPaP6__halfS2_jS1_S1_j.kd
    .uniform_work_group_size: 1
    .uses_dynamic_stack: false
    .vgpr_count:     18
    .vgpr_spill_count: 0
    .wavefront_size: 32
    .workgroup_processor_mode: 1
  - .args:
      - .address_space:  global
        .offset:         0
        .size:           8
        .value_kind:     global_buffer
      - .address_space:  global
        .offset:         8
        .size:           8
        .value_kind:     global_buffer
      - .address_space:  global
        .offset:         16
        .size:           8
        .value_kind:     global_buffer
      - .offset:         24
        .size:           4
        .value_kind:     by_value
      - .offset:         28
        .size:           4
        .value_kind:     by_value
      - .offset:         32
        .size:           4
        .value_kind:     hidden_block_count_x
      - .offset:         36
        .size:           4
        .value_kind:     hidden_block_count_y
      - .offset:         40
        .size:           4
        .value_kind:     hidden_block_count_z
      - .offset:         44
        .size:           2
        .value_kind:     hidden_group_size_x
      - .offset:         46
        .size:           2
        .value_kind:     hidden_group_size_y
      - .offset:         48
        .size:           2
        .value_kind:     hidden_group_size_z
      - .offset:         50
        .size:           2
        .value_kind:     hidden_remainder_x
      - .offset:         52
        .size:           2
        .value_kind:     hidden_remainder_y
      - .offset:         54
        .size:           2
        .value_kind:     hidden_remainder_z
      - .offset:         72
        .size:           8
        .value_kind:     hidden_global_offset_x
      - .offset:         80
        .size:           8
        .value_kind:     hidden_global_offset_y
      - .offset:         88
        .size:           8
        .value_kind:     hidden_global_offset_z
      - .offset:         96
        .size:           2
        .value_kind:     hidden_grid_dims
    .group_segment_fixed_size: 16384
    .kernarg_segment_align: 8
    .kernarg_segment_size: 288
    .language:       OpenCL C
    .language_version:
      - 2
      - 0
    .max_flat_workgroup_size: 1024
    .name:           _Z9gemv_fp16ILj64EEvP6__halfS1_S1_jj
    .private_segment_fixed_size: 0
    .sgpr_count:     18
    .sgpr_spill_count: 0
    .symbol:         _Z9gemv_fp16ILj64EEvP6__halfS1_S1_jj.kd
    .uniform_work_group_size: 1
    .uses_dynamic_stack: false
    .vgpr_count:     18
    .vgpr_spill_count: 0
    .wavefront_size: 32
    .workgroup_processor_mode: 1
  - .args:
      - .address_space:  global
        .offset:         0
        .size:           8
        .value_kind:     global_buffer
      - .address_space:  global
        .offset:         8
        .size:           8
        .value_kind:     global_buffer
      - .address_space:  global
        .offset:         16
        .size:           8
        .value_kind:     global_buffer
      - .offset:         24
        .size:           4
        .value_kind:     by_value
      - .offset:         28
        .size:           4
        .value_kind:     by_value
      - .offset:         32
        .size:           4
        .value_kind:     hidden_block_count_x
      - .offset:         36
        .size:           4
        .value_kind:     hidden_block_count_y
      - .offset:         40
        .size:           4
        .value_kind:     hidden_block_count_z
      - .offset:         44
        .size:           2
        .value_kind:     hidden_group_size_x
      - .offset:         46
        .size:           2
        .value_kind:     hidden_group_size_y
      - .offset:         48
        .size:           2
        .value_kind:     hidden_group_size_z
      - .offset:         50
        .size:           2
        .value_kind:     hidden_remainder_x
      - .offset:         52
        .size:           2
        .value_kind:     hidden_remainder_y
      - .offset:         54
        .size:           2
        .value_kind:     hidden_remainder_z
      - .offset:         72
        .size:           8
        .value_kind:     hidden_global_offset_x
      - .offset:         80
        .size:           8
        .value_kind:     hidden_global_offset_y
      - .offset:         88
        .size:           8
        .value_kind:     hidden_global_offset_z
      - .offset:         96
        .size:           2
        .value_kind:     hidden_grid_dims
    .group_segment_fixed_size: 8192
    .kernarg_segment_align: 8
    .kernarg_segment_size: 288
    .language:       OpenCL C
    .language_version:
      - 2
      - 0
    .max_flat_workgroup_size: 1024
    .name:           _Z9gemv_fp16ILj32EEvP6__halfS1_S1_jj
    .private_segment_fixed_size: 0
    .sgpr_count:     18
    .sgpr_spill_count: 0
    .symbol:         _Z9gemv_fp16ILj32EEvP6__halfS1_S1_jj.kd
    .uniform_work_group_size: 1
    .uses_dynamic_stack: false
    .vgpr_count:     18
    .vgpr_spill_count: 0
    .wavefront_size: 32
    .workgroup_processor_mode: 1
amdhsa.target:   amdgcn-amd-amdhsa--gfx1030
amdhsa.version:
  - 1
  - 2
...

	.end_amdgpu_metadata
